;; amdgpu-corpus repo=ROCm/rocFFT kind=compiled arch=gfx906 opt=O3
	.text
	.amdgcn_target "amdgcn-amd-amdhsa--gfx906"
	.amdhsa_code_object_version 6
	.protected	fft_rtc_back_len2197_factors_13_13_13_wgs_169_tpt_169_halfLds_dp_op_CI_CI_unitstride_sbrr_dirReg ; -- Begin function fft_rtc_back_len2197_factors_13_13_13_wgs_169_tpt_169_halfLds_dp_op_CI_CI_unitstride_sbrr_dirReg
	.globl	fft_rtc_back_len2197_factors_13_13_13_wgs_169_tpt_169_halfLds_dp_op_CI_CI_unitstride_sbrr_dirReg
	.p2align	8
	.type	fft_rtc_back_len2197_factors_13_13_13_wgs_169_tpt_169_halfLds_dp_op_CI_CI_unitstride_sbrr_dirReg,@function
fft_rtc_back_len2197_factors_13_13_13_wgs_169_tpt_169_halfLds_dp_op_CI_CI_unitstride_sbrr_dirReg: ; @fft_rtc_back_len2197_factors_13_13_13_wgs_169_tpt_169_halfLds_dp_op_CI_CI_unitstride_sbrr_dirReg
; %bb.0:
	s_load_dwordx4 s[8:11], s[4:5], 0x58
	s_load_dwordx4 s[12:15], s[4:5], 0x0
	;; [unrolled: 1-line block ×3, first 2 shown]
	v_mul_u32_u24_e32 v1, 0x184, v0
	v_add_u32_sdwa v6, s6, v1 dst_sel:DWORD dst_unused:UNUSED_PAD src0_sel:DWORD src1_sel:WORD_1
	v_mov_b32_e32 v1, 0
	s_waitcnt lgkmcnt(0)
	v_cmp_lt_u64_e64 s[0:1], s[14:15], 2
	v_mov_b32_e32 v4, 0
	v_mov_b32_e32 v7, v1
	s_and_b64 vcc, exec, s[0:1]
	v_mov_b32_e32 v5, 0
	s_cbranch_vccnz .LBB0_8
; %bb.1:
	s_load_dwordx2 s[0:1], s[4:5], 0x10
	s_add_u32 s2, s18, 8
	s_addc_u32 s3, s19, 0
	s_add_u32 s6, s16, 8
	v_mov_b32_e32 v4, 0
	s_addc_u32 s7, s17, 0
	v_mov_b32_e32 v5, 0
	s_waitcnt lgkmcnt(0)
	s_add_u32 s20, s0, 8
	v_mov_b32_e32 v53, v5
	s_addc_u32 s21, s1, 0
	s_mov_b64 s[22:23], 1
	v_mov_b32_e32 v52, v4
.LBB0_2:                                ; =>This Inner Loop Header: Depth=1
	s_load_dwordx2 s[24:25], s[20:21], 0x0
                                        ; implicit-def: $vgpr54_vgpr55
	s_waitcnt lgkmcnt(0)
	v_or_b32_e32 v2, s25, v7
	v_cmp_ne_u64_e32 vcc, 0, v[1:2]
	s_and_saveexec_b64 s[0:1], vcc
	s_xor_b64 s[26:27], exec, s[0:1]
	s_cbranch_execz .LBB0_4
; %bb.3:                                ;   in Loop: Header=BB0_2 Depth=1
	v_cvt_f32_u32_e32 v2, s24
	v_cvt_f32_u32_e32 v3, s25
	s_sub_u32 s0, 0, s24
	s_subb_u32 s1, 0, s25
	v_mac_f32_e32 v2, 0x4f800000, v3
	v_rcp_f32_e32 v2, v2
	v_mul_f32_e32 v2, 0x5f7ffffc, v2
	v_mul_f32_e32 v3, 0x2f800000, v2
	v_trunc_f32_e32 v3, v3
	v_mac_f32_e32 v2, 0xcf800000, v3
	v_cvt_u32_f32_e32 v3, v3
	v_cvt_u32_f32_e32 v2, v2
	v_mul_lo_u32 v8, s0, v3
	v_mul_hi_u32 v9, s0, v2
	v_mul_lo_u32 v11, s1, v2
	v_mul_lo_u32 v10, s0, v2
	v_add_u32_e32 v8, v9, v8
	v_add_u32_e32 v8, v8, v11
	v_mul_hi_u32 v9, v2, v10
	v_mul_lo_u32 v11, v2, v8
	v_mul_hi_u32 v13, v2, v8
	v_mul_hi_u32 v12, v3, v10
	v_mul_lo_u32 v10, v3, v10
	v_mul_hi_u32 v14, v3, v8
	v_add_co_u32_e32 v9, vcc, v9, v11
	v_addc_co_u32_e32 v11, vcc, 0, v13, vcc
	v_mul_lo_u32 v8, v3, v8
	v_add_co_u32_e32 v9, vcc, v9, v10
	v_addc_co_u32_e32 v9, vcc, v11, v12, vcc
	v_addc_co_u32_e32 v10, vcc, 0, v14, vcc
	v_add_co_u32_e32 v8, vcc, v9, v8
	v_addc_co_u32_e32 v9, vcc, 0, v10, vcc
	v_add_co_u32_e32 v2, vcc, v2, v8
	v_addc_co_u32_e32 v3, vcc, v3, v9, vcc
	v_mul_lo_u32 v8, s0, v3
	v_mul_hi_u32 v9, s0, v2
	v_mul_lo_u32 v10, s1, v2
	v_mul_lo_u32 v11, s0, v2
	v_add_u32_e32 v8, v9, v8
	v_add_u32_e32 v8, v8, v10
	v_mul_lo_u32 v12, v2, v8
	v_mul_hi_u32 v13, v2, v11
	v_mul_hi_u32 v14, v2, v8
	v_mul_hi_u32 v10, v3, v11
	v_mul_lo_u32 v11, v3, v11
	v_mul_hi_u32 v9, v3, v8
	v_add_co_u32_e32 v12, vcc, v13, v12
	v_addc_co_u32_e32 v13, vcc, 0, v14, vcc
	v_mul_lo_u32 v8, v3, v8
	v_add_co_u32_e32 v11, vcc, v12, v11
	v_addc_co_u32_e32 v10, vcc, v13, v10, vcc
	v_addc_co_u32_e32 v9, vcc, 0, v9, vcc
	v_add_co_u32_e32 v8, vcc, v10, v8
	v_addc_co_u32_e32 v9, vcc, 0, v9, vcc
	v_add_co_u32_e32 v8, vcc, v2, v8
	v_addc_co_u32_e32 v9, vcc, v3, v9, vcc
	v_mad_u64_u32 v[2:3], s[0:1], v6, v9, 0
	v_mul_hi_u32 v10, v6, v8
	v_add_co_u32_e32 v10, vcc, v10, v2
	v_addc_co_u32_e32 v11, vcc, 0, v3, vcc
	v_mad_u64_u32 v[2:3], s[0:1], v7, v8, 0
	v_mad_u64_u32 v[8:9], s[0:1], v7, v9, 0
	v_add_co_u32_e32 v2, vcc, v10, v2
	v_addc_co_u32_e32 v2, vcc, v11, v3, vcc
	v_addc_co_u32_e32 v3, vcc, 0, v9, vcc
	v_add_co_u32_e32 v8, vcc, v2, v8
	v_addc_co_u32_e32 v9, vcc, 0, v3, vcc
	v_mul_lo_u32 v10, s25, v8
	v_mul_lo_u32 v11, s24, v9
	v_mad_u64_u32 v[2:3], s[0:1], s24, v8, 0
	v_add3_u32 v3, v3, v11, v10
	v_sub_u32_e32 v10, v7, v3
	v_mov_b32_e32 v11, s25
	v_sub_co_u32_e32 v2, vcc, v6, v2
	v_subb_co_u32_e64 v10, s[0:1], v10, v11, vcc
	v_subrev_co_u32_e64 v11, s[0:1], s24, v2
	v_subbrev_co_u32_e64 v10, s[0:1], 0, v10, s[0:1]
	v_cmp_le_u32_e64 s[0:1], s25, v10
	v_cndmask_b32_e64 v12, 0, -1, s[0:1]
	v_cmp_le_u32_e64 s[0:1], s24, v11
	v_cndmask_b32_e64 v11, 0, -1, s[0:1]
	v_cmp_eq_u32_e64 s[0:1], s25, v10
	v_cndmask_b32_e64 v10, v12, v11, s[0:1]
	v_add_co_u32_e64 v11, s[0:1], 2, v8
	v_addc_co_u32_e64 v12, s[0:1], 0, v9, s[0:1]
	v_add_co_u32_e64 v13, s[0:1], 1, v8
	v_addc_co_u32_e64 v14, s[0:1], 0, v9, s[0:1]
	v_subb_co_u32_e32 v3, vcc, v7, v3, vcc
	v_cmp_ne_u32_e64 s[0:1], 0, v10
	v_cmp_le_u32_e32 vcc, s25, v3
	v_cndmask_b32_e64 v10, v14, v12, s[0:1]
	v_cndmask_b32_e64 v12, 0, -1, vcc
	v_cmp_le_u32_e32 vcc, s24, v2
	v_cndmask_b32_e64 v2, 0, -1, vcc
	v_cmp_eq_u32_e32 vcc, s25, v3
	v_cndmask_b32_e32 v2, v12, v2, vcc
	v_cmp_ne_u32_e32 vcc, 0, v2
	v_cndmask_b32_e64 v2, v13, v11, s[0:1]
	v_cndmask_b32_e32 v55, v9, v10, vcc
	v_cndmask_b32_e32 v54, v8, v2, vcc
.LBB0_4:                                ;   in Loop: Header=BB0_2 Depth=1
	s_andn2_saveexec_b64 s[0:1], s[26:27]
	s_cbranch_execz .LBB0_6
; %bb.5:                                ;   in Loop: Header=BB0_2 Depth=1
	v_cvt_f32_u32_e32 v2, s24
	s_sub_i32 s26, 0, s24
	v_mov_b32_e32 v55, v1
	v_rcp_iflag_f32_e32 v2, v2
	v_mul_f32_e32 v2, 0x4f7ffffe, v2
	v_cvt_u32_f32_e32 v2, v2
	v_mul_lo_u32 v3, s26, v2
	v_mul_hi_u32 v3, v2, v3
	v_add_u32_e32 v2, v2, v3
	v_mul_hi_u32 v2, v6, v2
	v_mul_lo_u32 v3, v2, s24
	v_add_u32_e32 v8, 1, v2
	v_sub_u32_e32 v3, v6, v3
	v_subrev_u32_e32 v9, s24, v3
	v_cmp_le_u32_e32 vcc, s24, v3
	v_cndmask_b32_e32 v3, v3, v9, vcc
	v_cndmask_b32_e32 v2, v2, v8, vcc
	v_add_u32_e32 v8, 1, v2
	v_cmp_le_u32_e32 vcc, s24, v3
	v_cndmask_b32_e32 v54, v2, v8, vcc
.LBB0_6:                                ;   in Loop: Header=BB0_2 Depth=1
	s_or_b64 exec, exec, s[0:1]
	v_mul_lo_u32 v8, v55, s24
	v_mul_lo_u32 v9, v54, s25
	v_mad_u64_u32 v[2:3], s[0:1], v54, s24, 0
	s_load_dwordx2 s[0:1], s[6:7], 0x0
	s_load_dwordx2 s[24:25], s[2:3], 0x0
	v_add3_u32 v3, v3, v9, v8
	v_sub_co_u32_e32 v2, vcc, v6, v2
	v_subb_co_u32_e32 v3, vcc, v7, v3, vcc
	s_waitcnt lgkmcnt(0)
	v_mul_lo_u32 v6, s0, v3
	v_mul_lo_u32 v7, s1, v2
	v_mad_u64_u32 v[4:5], s[0:1], s0, v2, v[4:5]
	v_mul_lo_u32 v3, s24, v3
	v_mul_lo_u32 v8, s25, v2
	v_mad_u64_u32 v[52:53], s[0:1], s24, v2, v[52:53]
	s_add_u32 s22, s22, 1
	s_addc_u32 s23, s23, 0
	s_add_u32 s2, s2, 8
	v_add3_u32 v53, v8, v53, v3
	s_addc_u32 s3, s3, 0
	v_mov_b32_e32 v2, s14
	s_add_u32 s6, s6, 8
	v_mov_b32_e32 v3, s15
	s_addc_u32 s7, s7, 0
	v_cmp_ge_u64_e32 vcc, s[22:23], v[2:3]
	s_add_u32 s20, s20, 8
	v_add3_u32 v5, v7, v5, v6
	s_addc_u32 s21, s21, 0
	s_cbranch_vccnz .LBB0_9
; %bb.7:                                ;   in Loop: Header=BB0_2 Depth=1
	v_mov_b32_e32 v6, v54
	v_mov_b32_e32 v7, v55
	s_branch .LBB0_2
.LBB0_8:
	v_mov_b32_e32 v53, v5
	v_mov_b32_e32 v55, v7
	;; [unrolled: 1-line block ×4, first 2 shown]
.LBB0_9:
	s_load_dwordx2 s[0:1], s[4:5], 0x28
	s_lshl_b64 s[6:7], s[14:15], 3
	s_add_u32 s2, s18, s6
	s_addc_u32 s3, s19, s7
                                        ; implicit-def: $sgpr14_sgpr15
                                        ; implicit-def: $vgpr58
	s_waitcnt lgkmcnt(0)
	v_cmp_gt_u64_e32 vcc, s[0:1], v[54:55]
	v_cmp_le_u64_e64 s[0:1], s[0:1], v[54:55]
	s_and_saveexec_b64 s[4:5], s[0:1]
	s_xor_b64 s[0:1], exec, s[4:5]
; %bb.10:
	s_mov_b32 s4, 0x183c978
	v_mul_hi_u32 v1, v0, s4
	s_mov_b64 s[14:15], 0
                                        ; implicit-def: $vgpr4_vgpr5
	v_mul_u32_u24_e32 v1, 0xa9, v1
	v_sub_u32_e32 v58, v0, v1
                                        ; implicit-def: $vgpr0
; %bb.11:
	s_or_saveexec_b64 s[4:5], s[0:1]
	v_mov_b32_e32 v57, s15
	v_mov_b32_e32 v56, s14
                                        ; implicit-def: $vgpr50_vgpr51
                                        ; implicit-def: $vgpr42_vgpr43
                                        ; implicit-def: $vgpr34_vgpr35
                                        ; implicit-def: $vgpr22_vgpr23
                                        ; implicit-def: $vgpr14_vgpr15
                                        ; implicit-def: $vgpr6_vgpr7
                                        ; implicit-def: $vgpr2_vgpr3
                                        ; implicit-def: $vgpr10_vgpr11
                                        ; implicit-def: $vgpr18_vgpr19
                                        ; implicit-def: $vgpr30_vgpr31
                                        ; implicit-def: $vgpr38_vgpr39
                                        ; implicit-def: $vgpr46_vgpr47
                                        ; implicit-def: $vgpr26_vgpr27
	s_xor_b64 exec, exec, s[4:5]
	s_cbranch_execz .LBB0_13
; %bb.12:
	s_add_u32 s0, s16, s6
	s_addc_u32 s1, s17, s7
	s_load_dwordx2 s[0:1], s[0:1], 0x0
	s_mov_b32 s6, 0x183c978
	v_mul_hi_u32 v3, v0, s6
	s_waitcnt lgkmcnt(0)
	v_mul_lo_u32 v6, s1, v54
	v_mul_lo_u32 v7, s0, v55
	v_mad_u64_u32 v[1:2], s[0:1], s0, v54, 0
	v_mul_u32_u24_e32 v3, 0xa9, v3
	v_sub_u32_e32 v58, v0, v3
	v_add3_u32 v2, v2, v7, v6
	v_lshlrev_b64 v[0:1], 4, v[1:2]
	v_mov_b32_e32 v2, s9
	v_add_co_u32_e64 v3, s[0:1], s8, v0
	v_addc_co_u32_e64 v2, s[0:1], v2, v1, s[0:1]
	v_lshlrev_b64 v[0:1], 4, v[4:5]
	v_add_co_u32_e64 v0, s[0:1], v3, v0
	v_addc_co_u32_e64 v1, s[0:1], v2, v1, s[0:1]
	v_lshlrev_b32_e32 v2, 4, v58
	v_add_co_u32_e64 v0, s[0:1], v0, v2
	v_addc_co_u32_e64 v1, s[0:1], 0, v1, s[0:1]
	s_movk_i32 s0, 0x1000
	v_add_co_u32_e64 v56, s[0:1], s0, v0
	v_addc_co_u32_e64 v57, s[0:1], 0, v1, s[0:1]
	s_movk_i32 s0, 0x2000
	;; [unrolled: 3-line block ×7, first 2 shown]
	v_add_co_u32_e64 v69, s[0:1], s0, v0
	global_load_dwordx4 v[24:27], v[0:1], off
	global_load_dwordx4 v[44:47], v[0:1], off offset:2704
	v_addc_co_u32_e64 v70, s[0:1], 0, v1, s[0:1]
	global_load_dwordx4 v[36:39], v[56:57], off offset:1312
	global_load_dwordx4 v[28:31], v[56:57], off offset:4016
	;; [unrolled: 1-line block ×11, first 2 shown]
	v_mov_b32_e32 v59, 0
	v_mov_b32_e32 v56, v58
	;; [unrolled: 1-line block ×3, first 2 shown]
.LBB0_13:
	s_or_b64 exec, exec, s[4:5]
	s_waitcnt vmcnt(11)
	v_add_f64 v[59:60], v[44:45], v[24:25]
	v_add_f64 v[61:62], v[46:47], v[26:27]
	s_waitcnt vmcnt(0)
	v_add_f64 v[63:64], v[48:49], v[44:45]
	v_add_f64 v[67:68], v[44:45], -v[48:49]
	v_add_f64 v[65:66], v[50:51], v[46:47]
	v_add_f64 v[69:70], v[46:47], -v[50:51]
	s_mov_b32 s18, 0x2ef20147
	s_mov_b32 s22, 0x24c2f84
	v_add_f64 v[44:45], v[36:37], v[59:60]
	v_add_f64 v[46:47], v[38:39], v[61:62]
	s_mov_b32 s19, 0xbfedeba7
	s_mov_b32 s23, 0xbfe5384d
	;; [unrolled: 1-line block ×3, first 2 shown]
	v_mul_f64 v[79:80], v[69:70], s[18:19]
	v_mul_f64 v[83:84], v[69:70], s[22:23]
	s_mov_b32 s14, 0xd0032e0c
	v_add_f64 v[44:45], v[28:29], v[44:45]
	v_add_f64 v[46:47], v[30:31], v[46:47]
	s_mov_b32 s5, 0xbfd6b1d8
	s_mov_b32 s15, 0xbfe7f3cc
	v_mul_f64 v[81:82], v[67:68], s[18:19]
	v_mul_f64 v[85:86], v[67:68], s[22:23]
	v_fma_f64 v[99:100], v[63:64], s[4:5], v[79:80]
	v_fma_f64 v[103:104], v[63:64], s[14:15], v[83:84]
	v_add_f64 v[44:45], v[16:17], v[44:45]
	v_add_f64 v[46:47], v[18:19], v[46:47]
	s_mov_b32 s28, 0x4267c47c
	s_mov_b32 s20, 0x42a4c3d2
	;; [unrolled: 1-line block ×6, first 2 shown]
	v_add_f64 v[44:45], v[8:9], v[44:45]
	v_add_f64 v[46:47], v[10:11], v[46:47]
	s_mov_b32 s9, 0xbfefc445
	s_mov_b32 s27, 0xbfcea1e5
	v_mul_f64 v[59:60], v[69:70], s[28:29]
	v_mul_f64 v[71:72], v[69:70], s[20:21]
	;; [unrolled: 1-line block ×3, first 2 shown]
	v_fma_f64 v[101:102], v[65:66], s[4:5], -v[81:82]
	v_add_f64 v[44:45], v[0:1], v[44:45]
	v_add_f64 v[46:47], v[2:3], v[46:47]
	v_fma_f64 v[105:106], v[65:66], s[14:15], -v[85:86]
	v_mul_f64 v[69:70], v[69:70], s[26:27]
	s_load_dwordx2 s[6:7], s[2:3], 0x0
	s_mov_b32 s0, 0xe00740e9
	s_mov_b32 s16, 0x1ea71119
	;; [unrolled: 1-line block ×3, first 2 shown]
	v_add_f64 v[44:45], v[4:5], v[44:45]
	v_add_f64 v[46:47], v[6:7], v[46:47]
	s_mov_b32 s24, 0x93053d00
	s_mov_b32 s1, 0x3fec55a7
	;; [unrolled: 1-line block ×5, first 2 shown]
	v_mul_f64 v[61:62], v[67:68], s[28:29]
	v_add_f64 v[44:45], v[12:13], v[44:45]
	v_add_f64 v[46:47], v[14:15], v[46:47]
	v_mul_f64 v[73:74], v[67:68], s[20:21]
	v_mul_f64 v[77:78], v[67:68], s[8:9]
	v_fma_f64 v[87:88], v[63:64], s[0:1], v[59:60]
	v_fma_f64 v[59:60], v[63:64], s[0:1], -v[59:60]
	v_fma_f64 v[91:92], v[63:64], s[16:17], v[71:72]
	v_fma_f64 v[71:72], v[63:64], s[16:17], -v[71:72]
	v_add_f64 v[44:45], v[20:21], v[44:45]
	v_add_f64 v[46:47], v[22:23], v[46:47]
	v_fma_f64 v[95:96], v[63:64], s[2:3], v[75:76]
	v_fma_f64 v[75:76], v[63:64], s[2:3], -v[75:76]
	v_fma_f64 v[79:80], v[63:64], s[4:5], -v[79:80]
	;; [unrolled: 1-line block ×3, first 2 shown]
	v_mul_f64 v[67:68], v[67:68], s[26:27]
	v_fma_f64 v[89:90], v[65:66], s[0:1], -v[61:62]
	v_add_f64 v[44:45], v[32:33], v[44:45]
	v_add_f64 v[46:47], v[34:35], v[46:47]
	v_fma_f64 v[61:62], v[65:66], s[0:1], v[61:62]
	v_fma_f64 v[93:94], v[65:66], s[16:17], -v[73:74]
	v_fma_f64 v[73:74], v[65:66], s[16:17], v[73:74]
	v_fma_f64 v[97:98], v[65:66], s[2:3], -v[77:78]
	v_fma_f64 v[77:78], v[65:66], s[2:3], v[77:78]
	v_fma_f64 v[81:82], v[65:66], s[4:5], v[81:82]
	v_add_f64 v[44:45], v[40:41], v[44:45]
	v_add_f64 v[107:108], v[42:43], v[46:47]
	;; [unrolled: 1-line block ×11, first 2 shown]
	v_add_f64 v[103:104], v[38:39], -v[42:43]
	v_add_f64 v[44:45], v[50:51], v[107:108]
	v_add_f64 v[50:51], v[26:27], v[101:102]
	;; [unrolled: 1-line block ×3, first 2 shown]
	v_add_f64 v[105:106], v[36:37], -v[40:41]
	v_add_f64 v[36:37], v[40:41], v[36:37]
	v_fma_f64 v[107:108], v[63:64], s[24:25], v[69:70]
	v_fma_f64 v[63:64], v[63:64], s[24:25], -v[69:70]
	v_mul_f64 v[40:41], v[103:104], s[20:21]
	v_add_f64 v[79:80], v[24:25], v[79:80]
	v_fma_f64 v[85:86], v[65:66], s[14:15], v[85:86]
	v_add_f64 v[38:39], v[42:43], v[38:39]
	v_mul_f64 v[42:43], v[105:106], s[20:21]
	v_fma_f64 v[109:110], v[65:66], s[24:25], -v[67:68]
	v_fma_f64 v[65:66], v[65:66], s[24:25], v[67:68]
	v_add_f64 v[67:68], v[24:25], v[83:84]
	v_fma_f64 v[83:84], v[36:37], s[16:17], v[40:41]
	v_add_f64 v[107:108], v[24:25], v[107:108]
	v_add_f64 v[24:25], v[24:25], v[63:64]
	v_mul_f64 v[63:64], v[103:104], s[18:19]
	v_add_f64 v[89:90], v[26:27], v[89:90]
	v_add_f64 v[61:62], v[26:27], v[61:62]
	;; [unrolled: 1-line block ×8, first 2 shown]
	v_fma_f64 v[85:86], v[38:39], s[16:17], -v[42:43]
	v_add_f64 v[109:110], v[26:27], v[109:110]
	v_add_f64 v[26:27], v[26:27], v[65:66]
	v_mul_f64 v[65:66], v[105:106], s[18:19]
	v_add_f64 v[83:84], v[83:84], v[87:88]
	v_mul_f64 v[87:88], v[103:104], s[26:27]
	v_fma_f64 v[40:41], v[36:37], s[16:17], -v[40:41]
	v_fma_f64 v[111:112], v[36:37], s[4:5], v[63:64]
	s_mov_b32 s31, 0x3fe5384d
	s_mov_b32 s30, s22
	v_add_f64 v[85:86], v[85:86], v[89:90]
	v_mul_f64 v[89:90], v[105:106], s[26:27]
	v_fma_f64 v[42:43], v[38:39], s[16:17], v[42:43]
	v_fma_f64 v[113:114], v[38:39], s[4:5], -v[65:66]
	v_fma_f64 v[63:64], v[36:37], s[4:5], -v[63:64]
	v_fma_f64 v[115:116], v[36:37], s[24:25], v[87:88]
	v_add_f64 v[40:41], v[40:41], v[59:60]
	v_add_f64 v[59:60], v[111:112], v[91:92]
	v_mul_f64 v[91:92], v[103:104], s[30:31]
	s_mov_b32 s35, 0x3fefc445
	s_mov_b32 s34, s8
	v_fma_f64 v[65:66], v[38:39], s[4:5], v[65:66]
	v_fma_f64 v[117:118], v[38:39], s[24:25], -v[89:90]
	v_add_f64 v[42:43], v[42:43], v[61:62]
	v_add_f64 v[61:62], v[113:114], v[93:94]
	;; [unrolled: 1-line block ×4, first 2 shown]
	v_mul_f64 v[93:94], v[105:106], s[30:31]
	v_mul_f64 v[95:96], v[103:104], s[34:35]
	v_fma_f64 v[111:112], v[36:37], s[14:15], v[91:92]
	v_fma_f64 v[91:92], v[36:37], s[14:15], -v[91:92]
	v_add_f64 v[65:66], v[65:66], v[73:74]
	v_add_f64 v[73:74], v[117:118], v[97:98]
	v_mul_f64 v[97:98], v[105:106], s[34:35]
	v_fma_f64 v[87:88], v[36:37], s[24:25], -v[87:88]
	v_fma_f64 v[113:114], v[38:39], s[14:15], -v[93:94]
	v_fma_f64 v[93:94], v[38:39], s[14:15], v[93:94]
	v_fma_f64 v[115:116], v[36:37], s[2:3], v[95:96]
	v_add_f64 v[79:80], v[91:92], v[79:80]
	v_add_f64 v[91:92], v[30:31], -v[34:35]
	s_mov_b32 s37, 0x3fddbe06
	s_mov_b32 s36, s28
	v_fma_f64 v[89:90], v[38:39], s[24:25], v[89:90]
	v_fma_f64 v[117:118], v[38:39], s[2:3], -v[97:98]
	v_add_f64 v[75:76], v[87:88], v[75:76]
	v_add_f64 v[81:82], v[93:94], v[81:82]
	;; [unrolled: 1-line block ×3, first 2 shown]
	v_add_f64 v[93:94], v[28:29], -v[32:33]
	v_mul_f64 v[99:100], v[103:104], s[36:37]
	v_add_f64 v[28:29], v[32:33], v[28:29]
	v_mul_f64 v[32:33], v[91:92], s[8:9]
	v_add_f64 v[77:78], v[89:90], v[77:78]
	v_add_f64 v[89:90], v[117:118], v[101:102]
	v_mul_f64 v[101:102], v[105:106], s[36:37]
	v_add_f64 v[30:31], v[34:35], v[30:31]
	v_mul_f64 v[34:35], v[93:94], s[8:9]
	v_fma_f64 v[95:96], v[36:37], s[2:3], -v[95:96]
	v_fma_f64 v[103:104], v[36:37], s[0:1], v[99:100]
	v_fma_f64 v[36:37], v[36:37], s[0:1], -v[99:100]
	v_fma_f64 v[99:100], v[28:29], s[2:3], v[32:33]
	s_mov_b32 s39, 0x3fedeba7
	s_mov_b32 s38, s18
	v_fma_f64 v[97:98], v[38:39], s[2:3], v[97:98]
	v_fma_f64 v[105:106], v[38:39], s[0:1], -v[101:102]
	v_fma_f64 v[38:39], v[38:39], s[0:1], v[101:102]
	v_fma_f64 v[101:102], v[30:31], s[2:3], -v[34:35]
	v_add_f64 v[24:25], v[36:37], v[24:25]
	v_add_f64 v[36:37], v[99:100], v[83:84]
	v_fma_f64 v[32:33], v[28:29], s[2:3], -v[32:33]
	v_mul_f64 v[99:100], v[91:92], s[38:39]
	v_mul_f64 v[83:84], v[91:92], s[26:27]
	v_fma_f64 v[34:35], v[30:31], s[2:3], v[34:35]
	v_add_f64 v[26:27], v[38:39], v[26:27]
	v_add_f64 v[38:39], v[101:102], v[85:86]
	v_mul_f64 v[85:86], v[93:94], s[26:27]
	v_mul_f64 v[101:102], v[93:94], s[38:39]
	v_add_f64 v[32:33], v[32:33], v[40:41]
	v_fma_f64 v[40:41], v[28:29], s[4:5], v[99:100]
	v_add_f64 v[67:68], v[95:96], v[67:68]
	v_add_f64 v[69:70], v[97:98], v[69:70]
	;; [unrolled: 1-line block ×4, first 2 shown]
	v_fma_f64 v[103:104], v[28:29], s[24:25], v[83:84]
	v_fma_f64 v[105:106], v[30:31], s[24:25], -v[85:86]
	v_fma_f64 v[83:84], v[28:29], s[24:25], -v[83:84]
	v_fma_f64 v[85:86], v[30:31], s[24:25], v[85:86]
	v_add_f64 v[34:35], v[34:35], v[42:43]
	v_fma_f64 v[42:43], v[30:31], s[4:5], -v[101:102]
	v_add_f64 v[40:41], v[40:41], v[71:72]
	v_fma_f64 v[71:72], v[28:29], s[4:5], -v[99:100]
	v_mul_f64 v[99:100], v[91:92], s[20:21]
	v_add_f64 v[59:60], v[103:104], v[59:60]
	v_add_f64 v[63:64], v[83:84], v[63:64]
	;; [unrolled: 1-line block ×3, first 2 shown]
	v_mul_f64 v[83:84], v[91:92], s[36:37]
	v_mul_f64 v[85:86], v[93:94], s[36:37]
	v_add_f64 v[42:43], v[42:43], v[73:74]
	v_fma_f64 v[73:74], v[30:31], s[4:5], v[101:102]
	v_mul_f64 v[101:102], v[93:94], s[20:21]
	v_add_f64 v[71:72], v[71:72], v[75:76]
	v_fma_f64 v[75:76], v[28:29], s[16:17], v[99:100]
	v_add_f64 v[61:62], v[105:106], v[61:62]
	v_fma_f64 v[103:104], v[28:29], s[0:1], v[83:84]
	v_fma_f64 v[105:106], v[30:31], s[0:1], -v[85:86]
	v_fma_f64 v[83:84], v[28:29], s[0:1], -v[83:84]
	v_fma_f64 v[85:86], v[30:31], s[0:1], v[85:86]
	v_add_f64 v[73:74], v[73:74], v[77:78]
	v_fma_f64 v[77:78], v[30:31], s[16:17], -v[101:102]
	v_add_f64 v[75:76], v[75:76], v[87:88]
	v_add_f64 v[87:88], v[18:19], -v[22:23]
	v_add_f64 v[18:19], v[22:23], v[18:19]
	s_mov_b32 s43, 0x3fcea1e5
	v_add_f64 v[79:80], v[83:84], v[79:80]
	v_add_f64 v[81:82], v[85:86], v[81:82]
	v_mul_f64 v[83:84], v[91:92], s[22:23]
	v_mul_f64 v[85:86], v[93:94], s[22:23]
	v_add_f64 v[77:78], v[77:78], v[89:90]
	v_add_f64 v[89:90], v[16:17], -v[20:21]
	v_fma_f64 v[93:94], v[30:31], s[16:17], v[101:102]
	v_add_f64 v[16:17], v[20:21], v[16:17]
	v_mul_f64 v[20:21], v[87:88], s[18:19]
	v_fma_f64 v[91:92], v[28:29], s[16:17], -v[99:100]
	v_fma_f64 v[99:100], v[28:29], s[14:15], v[83:84]
	v_fma_f64 v[101:102], v[30:31], s[14:15], -v[85:86]
	v_fma_f64 v[28:29], v[28:29], s[14:15], -v[83:84]
	v_mul_f64 v[22:23], v[89:90], s[18:19]
	v_fma_f64 v[30:31], v[30:31], s[14:15], v[85:86]
	v_add_f64 v[83:84], v[93:94], v[69:70]
	v_fma_f64 v[69:70], v[16:17], s[4:5], v[20:21]
	v_fma_f64 v[20:21], v[16:17], s[4:5], -v[20:21]
	v_add_f64 v[85:86], v[99:100], v[95:96]
	v_add_f64 v[67:68], v[91:92], v[67:68]
	;; [unrolled: 1-line block ×3, first 2 shown]
	v_fma_f64 v[93:94], v[18:19], s[4:5], -v[22:23]
	v_add_f64 v[26:27], v[30:31], v[26:27]
	v_mul_f64 v[28:29], v[87:88], s[30:31]
	v_mul_f64 v[30:31], v[89:90], s[30:31]
	v_fma_f64 v[22:23], v[18:19], s[4:5], v[22:23]
	v_add_f64 v[95:96], v[69:70], v[36:37]
	v_mul_f64 v[69:70], v[89:90], s[36:37]
	v_add_f64 v[91:92], v[101:102], v[97:98]
	v_add_f64 v[38:39], v[93:94], v[38:39]
	v_mul_f64 v[36:37], v[87:88], s[36:37]
	v_fma_f64 v[93:94], v[16:17], s[14:15], v[28:29]
	v_fma_f64 v[97:98], v[18:19], s[14:15], -v[30:31]
	v_add_f64 v[20:21], v[20:21], v[32:33]
	v_add_f64 v[32:33], v[22:23], v[34:35]
	v_fma_f64 v[34:35], v[18:19], s[0:1], -v[69:70]
	s_mov_b32 s42, s26
	v_add_f64 v[48:49], v[111:112], v[48:49]
	v_add_f64 v[50:51], v[113:114], v[50:51]
	v_fma_f64 v[22:23], v[16:17], s[14:15], -v[28:29]
	v_fma_f64 v[28:29], v[18:19], s[14:15], v[30:31]
	v_fma_f64 v[30:31], v[16:17], s[0:1], v[36:37]
	v_add_f64 v[59:60], v[93:94], v[59:60]
	v_add_f64 v[61:62], v[97:98], v[61:62]
	v_mul_f64 v[93:94], v[87:88], s[8:9]
	v_mul_f64 v[97:98], v[89:90], s[8:9]
	v_add_f64 v[42:43], v[34:35], v[42:43]
	v_fma_f64 v[34:35], v[18:19], s[0:1], v[69:70]
	v_mul_f64 v[99:100], v[89:90], s[42:43]
	v_add_f64 v[48:49], v[103:104], v[48:49]
	v_add_f64 v[50:51], v[105:106], v[50:51]
	;; [unrolled: 1-line block ×4, first 2 shown]
	v_fma_f64 v[22:23], v[16:17], s[0:1], -v[36:37]
	v_fma_f64 v[36:37], v[16:17], s[2:3], v[93:94]
	v_fma_f64 v[40:41], v[18:19], s[2:3], -v[97:98]
	v_fma_f64 v[69:70], v[16:17], s[2:3], -v[93:94]
	v_add_f64 v[101:102], v[34:35], v[73:74]
	v_fma_f64 v[34:35], v[18:19], s[24:25], -v[99:100]
	s_mov_b32 s41, 0x3fea55e2
	s_mov_b32 s40, s20
	v_add_f64 v[28:29], v[28:29], v[65:66]
	v_mul_f64 v[65:66], v[87:88], s[42:43]
	v_fma_f64 v[93:94], v[18:19], s[2:3], v[97:98]
	v_add_f64 v[48:49], v[36:37], v[48:49]
	v_add_f64 v[103:104], v[40:41], v[50:51]
	;; [unrolled: 1-line block ×3, first 2 shown]
	v_mul_f64 v[36:37], v[87:88], s[40:41]
	v_mul_f64 v[40:41], v[89:90], s[40:41]
	v_add_f64 v[69:70], v[34:35], v[77:78]
	v_add_f64 v[77:78], v[10:11], -v[14:15]
	v_add_f64 v[87:88], v[8:9], -v[12:13]
	v_add_f64 v[97:98], v[22:23], v[71:72]
	v_fma_f64 v[22:23], v[16:17], s[24:25], v[65:66]
	v_add_f64 v[81:82], v[93:94], v[81:82]
	v_fma_f64 v[34:35], v[18:19], s[24:25], v[99:100]
	v_fma_f64 v[50:51], v[16:17], s[16:17], v[36:37]
	v_add_f64 v[12:13], v[12:13], v[8:9]
	v_add_f64 v[14:15], v[14:15], v[10:11]
	v_mul_f64 v[89:90], v[77:78], s[22:23]
	v_mul_f64 v[93:94], v[87:88], s[22:23]
	v_fma_f64 v[10:11], v[18:19], s[16:17], v[40:41]
	v_add_f64 v[75:76], v[22:23], v[75:76]
	v_fma_f64 v[22:23], v[16:17], s[24:25], -v[65:66]
	v_fma_f64 v[65:66], v[18:19], s[16:17], -v[40:41]
	;; [unrolled: 1-line block ×3, first 2 shown]
	v_add_f64 v[73:74], v[34:35], v[83:84]
	v_add_f64 v[34:35], v[50:51], v[85:86]
	v_fma_f64 v[16:17], v[12:13], s[14:15], v[89:90]
	v_fma_f64 v[18:19], v[14:15], s[14:15], -v[93:94]
	v_add_f64 v[10:11], v[10:11], v[26:27]
	v_mul_f64 v[26:27], v[77:78], s[34:35]
	v_mul_f64 v[50:51], v[87:88], s[34:35]
	v_add_f64 v[71:72], v[22:23], v[67:68]
	v_add_f64 v[36:37], v[65:66], v[91:92]
	;; [unrolled: 1-line block ×3, first 2 shown]
	v_fma_f64 v[40:41], v[12:13], s[14:15], -v[89:90]
	v_fma_f64 v[65:66], v[14:15], s[14:15], v[93:94]
	v_add_f64 v[24:25], v[16:17], v[95:96]
	v_add_f64 v[22:23], v[18:19], v[38:39]
	v_mul_f64 v[16:17], v[77:78], s[20:21]
	v_mul_f64 v[18:19], v[87:88], s[20:21]
	v_fma_f64 v[67:68], v[12:13], s[2:3], v[26:27]
	v_fma_f64 v[83:84], v[14:15], s[2:3], -v[50:51]
	v_add_f64 v[38:39], v[40:41], v[20:21]
	v_add_f64 v[40:41], v[65:66], v[32:33]
	v_fma_f64 v[20:21], v[12:13], s[2:3], -v[26:27]
	v_fma_f64 v[26:27], v[14:15], s[2:3], v[50:51]
	v_fma_f64 v[65:66], v[12:13], s[16:17], v[16:17]
	v_fma_f64 v[85:86], v[14:15], s[16:17], -v[18:19]
	v_add_f64 v[59:60], v[67:68], v[59:60]
	v_add_f64 v[50:51], v[83:84], v[61:62]
	v_mul_f64 v[61:62], v[77:78], s[42:43]
	v_mul_f64 v[67:68], v[87:88], s[42:43]
	v_fma_f64 v[16:17], v[12:13], s[16:17], -v[16:17]
	v_mul_f64 v[83:84], v[77:78], s[36:37]
	v_add_f64 v[32:33], v[20:21], v[63:64]
	v_add_f64 v[26:27], v[26:27], v[28:29]
	;; [unrolled: 1-line block ×4, first 2 shown]
	v_fma_f64 v[18:19], v[14:15], s[16:17], v[18:19]
	v_fma_f64 v[20:21], v[12:13], s[24:25], v[61:62]
	v_fma_f64 v[65:66], v[14:15], s[24:25], -v[67:68]
	v_fma_f64 v[85:86], v[12:13], s[24:25], -v[61:62]
	v_mul_f64 v[89:90], v[87:88], s[36:37]
	v_fma_f64 v[67:68], v[14:15], s[24:25], v[67:68]
	v_add_f64 v[63:64], v[16:17], v[97:98]
	v_fma_f64 v[16:17], v[12:13], s[0:1], v[83:84]
	v_add_f64 v[61:62], v[18:19], v[101:102]
	v_add_f64 v[42:43], v[20:21], v[48:49]
	;; [unrolled: 1-line block ×4, first 2 shown]
	v_fma_f64 v[79:80], v[14:15], s[0:1], -v[89:90]
	v_add_f64 v[18:19], v[67:68], v[81:82]
	v_fma_f64 v[81:82], v[12:13], s[0:1], -v[83:84]
	v_mul_f64 v[65:66], v[77:78], s[18:19]
	v_mul_f64 v[67:68], v[87:88], s[18:19]
	v_add_f64 v[16:17], v[16:17], v[75:76]
	v_add_f64 v[75:76], v[2:3], -v[6:7]
	v_add_f64 v[77:78], v[0:1], -v[4:5]
	v_fma_f64 v[83:84], v[14:15], s[0:1], v[89:90]
	v_add_f64 v[69:70], v[79:80], v[69:70]
	v_add_f64 v[71:72], v[81:82], v[71:72]
	v_fma_f64 v[79:80], v[12:13], s[4:5], v[65:66]
	v_fma_f64 v[81:82], v[14:15], s[4:5], -v[67:68]
	v_add_f64 v[0:1], v[4:5], v[0:1]
	v_mul_f64 v[4:5], v[75:76], s[26:27]
	v_add_f64 v[2:3], v[6:7], v[2:3]
	v_mul_f64 v[6:7], v[77:78], s[26:27]
	v_fma_f64 v[12:13], v[12:13], s[4:5], -v[65:66]
	v_fma_f64 v[14:15], v[14:15], s[4:5], v[67:68]
	v_mul_f64 v[65:66], v[75:76], s[36:37]
	v_add_f64 v[34:35], v[79:80], v[34:35]
	v_add_f64 v[36:37], v[81:82], v[36:37]
	v_fma_f64 v[67:68], v[0:1], s[24:25], v[4:5]
	v_mul_f64 v[79:80], v[77:78], s[36:37]
	v_fma_f64 v[81:82], v[2:3], s[24:25], -v[6:7]
	v_fma_f64 v[6:7], v[2:3], s[24:25], v[6:7]
	v_add_f64 v[85:86], v[14:15], v[10:11]
	v_fma_f64 v[10:11], v[0:1], s[0:1], v[65:66]
	v_fma_f64 v[4:5], v[0:1], s[24:25], -v[4:5]
	v_mul_f64 v[14:15], v[75:76], s[22:23]
	v_add_f64 v[73:74], v[83:84], v[73:74]
	v_add_f64 v[83:84], v[12:13], v[8:9]
	;; [unrolled: 1-line block ×3, first 2 shown]
	v_fma_f64 v[12:13], v[2:3], s[0:1], -v[79:80]
	v_add_f64 v[67:68], v[81:82], v[22:23]
	v_mul_f64 v[22:23], v[77:78], s[22:23]
	v_add_f64 v[8:9], v[6:7], v[40:41]
	v_add_f64 v[6:7], v[10:11], v[59:60]
	v_fma_f64 v[10:11], v[0:1], s[0:1], -v[65:66]
	v_add_f64 v[4:5], v[4:5], v[38:39]
	v_fma_f64 v[38:39], v[2:3], s[0:1], v[79:80]
	v_fma_f64 v[40:41], v[0:1], s[14:15], v[14:15]
	v_mul_f64 v[59:60], v[75:76], s[40:41]
	v_add_f64 v[12:13], v[12:13], v[50:51]
	v_fma_f64 v[50:51], v[2:3], s[14:15], -v[22:23]
	v_mul_f64 v[65:66], v[77:78], s[40:41]
	v_fma_f64 v[14:15], v[0:1], s[14:15], -v[14:15]
	v_add_f64 v[79:80], v[10:11], v[32:33]
	v_fma_f64 v[32:33], v[2:3], s[14:15], v[22:23]
	v_add_f64 v[10:11], v[38:39], v[26:27]
	v_add_f64 v[26:27], v[40:41], v[28:29]
	v_fma_f64 v[28:29], v[0:1], s[16:17], v[59:60]
	v_fma_f64 v[40:41], v[0:1], s[16:17], -v[59:60]
	v_add_f64 v[22:23], v[50:51], v[30:31]
	v_add_f64 v[38:39], v[14:15], v[63:64]
	v_mul_f64 v[50:51], v[75:76], s[18:19]
	v_add_f64 v[14:15], v[32:33], v[61:62]
	v_fma_f64 v[32:33], v[2:3], s[16:17], v[65:66]
	v_fma_f64 v[30:31], v[2:3], s[16:17], -v[65:66]
	v_mul_f64 v[59:60], v[77:78], s[18:19]
	v_add_f64 v[28:29], v[28:29], v[42:43]
	v_mul_f64 v[42:43], v[75:76], s[34:35]
	v_add_f64 v[20:21], v[40:41], v[20:21]
	v_mul_f64 v[40:41], v[77:78], s[34:35]
	s_movk_i32 s33, 0x68
	v_add_f64 v[63:64], v[32:33], v[18:19]
	v_fma_f64 v[18:19], v[0:1], s[4:5], v[50:51]
	v_add_f64 v[30:31], v[30:31], v[48:49]
	v_fma_f64 v[32:33], v[2:3], s[4:5], -v[59:60]
	v_fma_f64 v[48:49], v[0:1], s[4:5], -v[50:51]
	v_fma_f64 v[50:51], v[2:3], s[4:5], v[59:60]
	v_fma_f64 v[59:60], v[0:1], s[2:3], v[42:43]
	v_fma_f64 v[0:1], v[0:1], s[2:3], -v[42:43]
	v_fma_f64 v[42:43], v[2:3], s[2:3], -v[40:41]
	v_fma_f64 v[2:3], v[2:3], s[2:3], v[40:41]
	v_add_f64 v[16:17], v[18:19], v[16:17]
	v_add_f64 v[40:41], v[32:33], v[69:70]
	;; [unrolled: 1-line block ×8, first 2 shown]
	v_mad_u32_u24 v32, v58, s33, 0
	s_movk_i32 s33, 0xffa0
	ds_write2_b64 v32, v[46:47], v[24:25] offset1:1
	ds_write2_b64 v32, v[6:7], v[26:27] offset0:2 offset1:3
	ds_write2_b64 v32, v[28:29], v[16:17] offset0:4 offset1:5
	;; [unrolled: 1-line block ×5, first 2 shown]
	ds_write_b64 v32, v[4:5] offset:96
	v_mad_i32_i24 v33, v58, s33, v32
	v_add_u32_e32 v34, 0x800, v33
	v_add_u32_e32 v35, 0x1400, v33
	;; [unrolled: 1-line block ×5, first 2 shown]
	s_movk_i32 s33, 0x4f
	s_waitcnt lgkmcnt(0)
	s_barrier
	ds_read2_b64 v[0:3], v33 offset1:169
	ds_read2_b64 v[16:19], v34 offset0:82 offset1:251
	ds_read2_b64 v[26:29], v35 offset0:36 offset1:205
	;; [unrolled: 1-line block ×5, first 2 shown]
	ds_read_b64 v[103:104], v33 offset:16224
	s_waitcnt lgkmcnt(0)
	s_barrier
	ds_write2_b64 v32, v[44:45], v[67:68] offset1:1
	ds_write2_b64 v32, v[12:13], v[22:23] offset0:2 offset1:3
	ds_write2_b64 v32, v[30:31], v[40:41] offset0:4 offset1:5
	;; [unrolled: 1-line block ×5, first 2 shown]
	ds_write_b64 v32, v[8:9] offset:96
	v_mul_lo_u16_sdwa v8, v58, s33 dst_sel:DWORD dst_unused:UNUSED_PAD src0_sel:BYTE_0 src1_sel:DWORD
	v_lshrrev_b16_e32 v40, 10, v8
	v_mul_lo_u16_e32 v8, 13, v40
	v_sub_u16_e32 v39, v58, v8
	v_mov_b32_e32 v8, 12
	v_mul_u32_u24_sdwa v8, v39, v8 dst_sel:DWORD dst_unused:UNUSED_PAD src0_sel:BYTE_0 src1_sel:DWORD
	v_lshlrev_b32_e32 v24, 4, v8
	s_waitcnt lgkmcnt(0)
	s_barrier
	global_load_dwordx4 v[8:11], v24, s[12:13]
	global_load_dwordx4 v[12:15], v24, s[12:13] offset:16
	global_load_dwordx4 v[20:23], v24, s[12:13] offset:32
	;; [unrolled: 1-line block ×10, first 2 shown]
	ds_read2_b64 v[91:94], v33 offset1:169
	global_load_dwordx4 v[95:98], v24, s[12:13] offset:160
	ds_read2_b64 v[99:102], v34 offset0:82 offset1:251
	s_waitcnt vmcnt(11) lgkmcnt(1)
	v_mul_f64 v[24:25], v[93:94], v[10:11]
	v_mul_f64 v[10:11], v[2:3], v[10:11]
	s_waitcnt vmcnt(10) lgkmcnt(0)
	v_mul_f64 v[30:31], v[99:100], v[14:15]
	v_mul_f64 v[14:15], v[16:17], v[14:15]
	v_fma_f64 v[2:3], v[2:3], v[8:9], v[24:25]
	v_fma_f64 v[50:51], v[93:94], v[8:9], -v[10:11]
	v_fma_f64 v[93:94], v[16:17], v[12:13], v[30:31]
	v_fma_f64 v[99:100], v[99:100], v[12:13], -v[14:15]
	s_waitcnt vmcnt(9)
	v_mul_f64 v[12:13], v[101:102], v[22:23]
	v_mul_f64 v[14:15], v[18:19], v[22:23]
	ds_read2_b64 v[8:11], v35 offset0:36 offset1:205
	s_waitcnt vmcnt(8)
	v_mul_f64 v[30:31], v[26:27], v[43:44]
	v_add_f64 v[16:17], v[0:1], v[2:3]
	v_add_f64 v[22:23], v[91:92], v[50:51]
	s_waitcnt lgkmcnt(0)
	v_mul_f64 v[24:25], v[8:9], v[43:44]
	v_fma_f64 v[105:106], v[18:19], v[20:21], v[12:13]
	v_fma_f64 v[101:102], v[101:102], v[20:21], -v[14:15]
	s_waitcnt vmcnt(7)
	v_mul_f64 v[20:21], v[28:29], v[65:66]
	ds_read2_b64 v[12:15], v36 offset0:54 offset1:223
	v_add_f64 v[16:17], v[16:17], v[93:94]
	v_add_f64 v[18:19], v[22:23], v[99:100]
	s_waitcnt vmcnt(6)
	v_mul_f64 v[43:44], v[46:47], v[69:70]
	v_fma_f64 v[24:25], v[26:27], v[41:42], v[24:25]
	v_fma_f64 v[26:27], v[8:9], v[41:42], -v[30:31]
	v_mul_f64 v[8:9], v[10:11], v[65:66]
	s_waitcnt lgkmcnt(0)
	v_mul_f64 v[41:42], v[12:13], v[69:70]
	s_waitcnt vmcnt(2)
	v_mul_f64 v[69:70], v[4:5], v[85:86]
	v_add_f64 v[22:23], v[16:17], v[105:106]
	v_add_f64 v[30:31], v[18:19], v[101:102]
	v_fma_f64 v[18:19], v[10:11], v[63:64], -v[20:21]
	v_fma_f64 v[10:11], v[12:13], v[67:68], -v[43:44]
	v_mul_f64 v[12:13], v[14:15], v[73:74]
	v_fma_f64 v[16:17], v[28:29], v[63:64], v[8:9]
	v_fma_f64 v[8:9], v[46:47], v[67:68], v[41:42]
	v_mul_f64 v[41:42], v[48:49], v[73:74]
	v_add_f64 v[20:21], v[22:23], v[24:25]
	v_add_f64 v[22:23], v[30:31], v[26:27]
	ds_read2_b64 v[28:31], v37 offset0:72 offset1:241
	v_mul_f64 v[63:64], v[59:60], v[77:78]
	v_fma_f64 v[12:13], v[48:49], v[71:72], v[12:13]
	s_waitcnt vmcnt(1)
	v_mul_f64 v[67:68], v[103:104], v[89:90]
	s_waitcnt lgkmcnt(0)
	v_mul_f64 v[45:46], v[28:29], v[77:78]
	v_add_f64 v[20:21], v[20:21], v[16:17]
	v_add_f64 v[22:23], v[22:23], v[18:19]
	v_fma_f64 v[14:15], v[14:15], v[71:72], -v[41:42]
	ds_read2_b64 v[41:44], v38 offset0:26 offset1:195
	v_add_f64 v[47:48], v[20:21], v[8:9]
	v_add_f64 v[65:66], v[22:23], v[10:11]
	v_fma_f64 v[20:21], v[59:60], v[75:76], v[45:46]
	v_fma_f64 v[22:23], v[28:29], v[75:76], -v[63:64]
	v_mul_f64 v[28:29], v[30:31], v[81:82]
	v_mul_f64 v[45:46], v[61:62], v[81:82]
	ds_read_b64 v[63:64], v33 offset:16224
	s_waitcnt lgkmcnt(0)
	v_add_f64 v[47:48], v[47:48], v[12:13]
	v_add_f64 v[59:60], v[65:66], v[14:15]
	v_mul_f64 v[65:66], v[41:42], v[85:86]
	v_fma_f64 v[41:42], v[41:42], v[83:84], -v[69:70]
	v_fma_f64 v[28:29], v[61:62], v[79:80], v[28:29]
	v_fma_f64 v[30:31], v[30:31], v[79:80], -v[45:46]
	s_waitcnt vmcnt(0)
	s_barrier
	v_add_f64 v[45:46], v[47:48], v[20:21]
	v_add_f64 v[47:48], v[59:60], v[22:23]
	v_mul_f64 v[59:60], v[63:64], v[89:90]
	v_fma_f64 v[61:62], v[4:5], v[83:84], v[65:66]
	v_fma_f64 v[4:5], v[63:64], v[87:88], -v[67:68]
	v_mul_f64 v[63:64], v[43:44], v[97:98]
	v_mul_f64 v[65:66], v[6:7], v[97:98]
	v_add_f64 v[45:46], v[45:46], v[28:29]
	v_add_f64 v[47:48], v[47:48], v[30:31]
	v_fma_f64 v[59:60], v[103:104], v[87:88], v[59:60]
	v_add_f64 v[67:68], v[50:51], -v[4:5]
	v_fma_f64 v[6:7], v[6:7], v[95:96], v[63:64]
	v_fma_f64 v[43:44], v[43:44], v[95:96], -v[65:66]
	v_add_f64 v[49:50], v[50:51], v[4:5]
	v_add_f64 v[45:46], v[45:46], v[61:62]
	;; [unrolled: 1-line block ×4, first 2 shown]
	v_add_f64 v[65:66], v[2:3], -v[59:60]
	v_mul_f64 v[69:70], v[67:68], s[28:29]
	v_mul_f64 v[75:76], v[67:68], s[8:9]
	;; [unrolled: 1-line block ×4, first 2 shown]
	v_add_f64 v[2:3], v[45:46], v[6:7]
	v_add_f64 v[45:46], v[47:48], v[43:44]
	v_mul_f64 v[77:78], v[49:50], s[2:3]
	v_mul_f64 v[89:90], v[49:50], s[4:5]
	v_mul_f64 v[95:96], v[67:68], s[22:23]
	v_mul_f64 v[97:98], v[49:50], s[14:15]
	v_add_f64 v[113:114], v[99:100], -v[43:44]
	v_add_f64 v[43:44], v[99:100], v[43:44]
	v_add_f64 v[2:3], v[2:3], v[59:60]
	;; [unrolled: 1-line block ×3, first 2 shown]
	v_mul_f64 v[45:46], v[67:68], s[20:21]
	v_mul_f64 v[59:60], v[49:50], s[16:17]
	;; [unrolled: 1-line block ×4, first 2 shown]
	v_fma_f64 v[47:48], v[63:64], s[0:1], v[69:70]
	v_fma_f64 v[73:74], v[65:66], s[36:37], v[71:72]
	v_fma_f64 v[69:70], v[63:64], s[0:1], -v[69:70]
	v_fma_f64 v[71:72], v[65:66], s[28:29], v[71:72]
	v_fma_f64 v[79:80], v[63:64], s[16:17], v[45:46]
	v_fma_f64 v[81:82], v[65:66], s[40:41], v[59:60]
	v_fma_f64 v[45:46], v[63:64], s[16:17], -v[45:46]
	v_fma_f64 v[59:60], v[65:66], s[20:21], v[59:60]
	;; [unrolled: 4-line block ×5, first 2 shown]
	v_add_f64 v[99:100], v[93:94], v[6:7]
	v_add_f64 v[6:7], v[93:94], -v[6:7]
	v_mul_f64 v[93:94], v[113:114], s[20:21]
	v_mul_f64 v[115:116], v[43:44], s[16:17]
	v_fma_f64 v[117:118], v[63:64], s[24:25], v[67:68]
	v_fma_f64 v[119:120], v[65:66], s[42:43], v[49:50]
	v_fma_f64 v[63:64], v[63:64], s[24:25], -v[67:68]
	v_fma_f64 v[49:50], v[65:66], s[26:27], v[49:50]
	v_add_f64 v[47:48], v[0:1], v[47:48]
	v_add_f64 v[73:74], v[91:92], v[73:74]
	;; [unrolled: 1-line block ×20, first 2 shown]
	v_fma_f64 v[95:96], v[99:100], s[16:17], v[93:94]
	v_fma_f64 v[97:98], v[6:7], s[40:41], v[115:116]
	v_add_f64 v[117:118], v[0:1], v[117:118]
	v_add_f64 v[119:120], v[91:92], v[119:120]
	;; [unrolled: 1-line block ×4, first 2 shown]
	v_mul_f64 v[63:64], v[113:114], s[18:19]
	v_mul_f64 v[91:92], v[43:44], s[4:5]
	v_add_f64 v[47:48], v[95:96], v[47:48]
	v_add_f64 v[73:74], v[97:98], v[73:74]
	v_fma_f64 v[93:94], v[99:100], s[16:17], -v[93:94]
	v_fma_f64 v[95:96], v[6:7], s[20:21], v[115:116]
	v_mul_f64 v[97:98], v[113:114], s[26:27]
	v_mul_f64 v[115:116], v[43:44], s[24:25]
	v_fma_f64 v[121:122], v[99:100], s[4:5], v[63:64]
	v_fma_f64 v[123:124], v[6:7], s[38:39], v[91:92]
	v_fma_f64 v[63:64], v[99:100], s[4:5], -v[63:64]
	v_fma_f64 v[91:92], v[6:7], s[18:19], v[91:92]
	v_add_f64 v[69:70], v[93:94], v[69:70]
	v_add_f64 v[71:72], v[95:96], v[71:72]
	v_fma_f64 v[93:94], v[99:100], s[24:25], v[97:98]
	v_fma_f64 v[95:96], v[6:7], s[42:43], v[115:116]
	v_add_f64 v[79:80], v[121:122], v[79:80]
	v_add_f64 v[81:82], v[123:124], v[81:82]
	;; [unrolled: 1-line block ×4, first 2 shown]
	v_mul_f64 v[63:64], v[113:114], s[30:31]
	v_mul_f64 v[91:92], v[43:44], s[14:15]
	v_add_f64 v[83:84], v[93:94], v[83:84]
	v_add_f64 v[85:86], v[95:96], v[85:86]
	v_mul_f64 v[93:94], v[113:114], s[34:35]
	v_mul_f64 v[95:96], v[43:44], s[2:3]
	v_fma_f64 v[97:98], v[99:100], s[24:25], -v[97:98]
	v_fma_f64 v[115:116], v[6:7], s[26:27], v[115:116]
	v_fma_f64 v[121:122], v[99:100], s[14:15], v[63:64]
	;; [unrolled: 1-line block ×3, first 2 shown]
	v_fma_f64 v[63:64], v[99:100], s[14:15], -v[63:64]
	v_fma_f64 v[91:92], v[6:7], s[30:31], v[91:92]
	v_fma_f64 v[125:126], v[99:100], s[2:3], v[93:94]
	;; [unrolled: 1-line block ×3, first 2 shown]
	v_add_f64 v[75:76], v[97:98], v[75:76]
	v_mul_f64 v[43:44], v[43:44], s[0:1]
	v_add_f64 v[97:98], v[121:122], v[103:104]
	v_add_f64 v[103:104], v[123:124], v[107:108]
	v_add_f64 v[107:108], v[101:102], -v[41:42]
	v_add_f64 v[41:42], v[101:102], v[41:42]
	v_add_f64 v[63:64], v[63:64], v[87:88]
	;; [unrolled: 1-line block ×5, first 2 shown]
	v_mul_f64 v[101:102], v[113:114], s[36:37]
	v_fma_f64 v[93:94], v[99:100], s[2:3], -v[93:94]
	v_fma_f64 v[95:96], v[6:7], s[34:35], v[95:96]
	v_add_f64 v[109:110], v[105:106], v[61:62]
	v_add_f64 v[61:62], v[105:106], -v[61:62]
	v_mul_f64 v[105:106], v[107:108], s[8:9]
	v_mul_f64 v[111:112], v[41:42], s[2:3]
	v_add_f64 v[77:78], v[115:116], v[77:78]
	v_fma_f64 v[113:114], v[99:100], s[0:1], v[101:102]
	v_fma_f64 v[115:116], v[6:7], s[28:29], v[43:44]
	v_fma_f64 v[99:100], v[99:100], s[0:1], -v[101:102]
	v_fma_f64 v[6:7], v[6:7], s[36:37], v[43:44]
	v_add_f64 v[43:44], v[93:94], v[65:66]
	v_add_f64 v[65:66], v[95:96], v[67:68]
	v_fma_f64 v[67:68], v[109:110], s[2:3], v[105:106]
	v_fma_f64 v[93:94], v[61:62], s[34:35], v[111:112]
	v_add_f64 v[95:96], v[113:114], v[117:118]
	v_add_f64 v[101:102], v[115:116], v[119:120]
	;; [unrolled: 1-line block ×4, first 2 shown]
	v_mul_f64 v[49:50], v[107:108], s[26:27]
	v_mul_f64 v[99:100], v[41:42], s[24:25]
	v_add_f64 v[47:48], v[67:68], v[47:48]
	v_add_f64 v[67:68], v[93:94], v[73:74]
	v_fma_f64 v[73:74], v[109:110], s[2:3], -v[105:106]
	v_fma_f64 v[93:94], v[61:62], s[8:9], v[111:112]
	v_mul_f64 v[105:106], v[107:108], s[38:39]
	v_mul_f64 v[111:112], v[41:42], s[4:5]
	v_fma_f64 v[113:114], v[109:110], s[24:25], v[49:50]
	v_fma_f64 v[115:116], v[61:62], s[42:43], v[99:100]
	v_fma_f64 v[49:50], v[109:110], s[24:25], -v[49:50]
	v_fma_f64 v[99:100], v[61:62], s[26:27], v[99:100]
	v_add_f64 v[69:70], v[73:74], v[69:70]
	v_add_f64 v[71:72], v[93:94], v[71:72]
	v_fma_f64 v[73:74], v[109:110], s[4:5], v[105:106]
	v_fma_f64 v[93:94], v[61:62], s[18:19], v[111:112]
	v_add_f64 v[79:80], v[113:114], v[79:80]
	v_add_f64 v[81:82], v[115:116], v[81:82]
	;; [unrolled: 1-line block ×4, first 2 shown]
	v_mul_f64 v[59:60], v[107:108], s[36:37]
	v_mul_f64 v[99:100], v[41:42], s[0:1]
	v_add_f64 v[73:74], v[73:74], v[83:84]
	v_add_f64 v[83:84], v[93:94], v[85:86]
	v_mul_f64 v[85:86], v[107:108], s[20:21]
	v_mul_f64 v[93:94], v[41:42], s[16:17]
	v_fma_f64 v[105:106], v[109:110], s[4:5], -v[105:106]
	v_fma_f64 v[111:112], v[61:62], s[38:39], v[111:112]
	v_fma_f64 v[113:114], v[109:110], s[0:1], v[59:60]
	;; [unrolled: 1-line block ×3, first 2 shown]
	v_fma_f64 v[59:60], v[109:110], s[0:1], -v[59:60]
	v_fma_f64 v[99:100], v[61:62], s[36:37], v[99:100]
	v_fma_f64 v[117:118], v[109:110], s[16:17], v[85:86]
	;; [unrolled: 1-line block ×3, first 2 shown]
	v_add_f64 v[75:76], v[105:106], v[75:76]
	v_mul_f64 v[41:42], v[41:42], s[14:15]
	v_fma_f64 v[85:86], v[109:110], s[16:17], -v[85:86]
	v_fma_f64 v[93:94], v[61:62], s[20:21], v[93:94]
	v_add_f64 v[59:60], v[59:60], v[63:64]
	v_add_f64 v[63:64], v[99:100], v[87:88]
	;; [unrolled: 1-line block ×4, first 2 shown]
	v_add_f64 v[91:92], v[26:27], -v[30:31]
	v_add_f64 v[26:27], v[26:27], v[30:31]
	v_mul_f64 v[30:31], v[107:108], s[22:23]
	v_add_f64 v[99:100], v[24:25], v[28:29]
	v_add_f64 v[24:25], v[24:25], -v[28:29]
	v_add_f64 v[77:78], v[111:112], v[77:78]
	v_fma_f64 v[111:112], v[61:62], s[30:31], v[41:42]
	v_fma_f64 v[41:42], v[61:62], s[22:23], v[41:42]
	v_mul_f64 v[28:29], v[91:92], s[18:19]
	v_mul_f64 v[105:106], v[26:27], s[4:5]
	v_fma_f64 v[107:108], v[109:110], s[14:15], v[30:31]
	v_fma_f64 v[30:31], v[109:110], s[14:15], -v[30:31]
	v_add_f64 v[43:44], v[85:86], v[43:44]
	v_add_f64 v[61:62], v[93:94], v[65:66]
	v_add_f64 v[103:104], v[115:116], v[103:104]
	v_add_f64 v[6:7], v[41:42], v[6:7]
	v_fma_f64 v[65:66], v[99:100], s[4:5], v[28:29]
	v_fma_f64 v[85:86], v[24:25], s[38:39], v[105:106]
	v_add_f64 v[93:94], v[107:108], v[95:96]
	v_add_f64 v[95:96], v[111:112], v[101:102]
	;; [unrolled: 1-line block ×3, first 2 shown]
	v_mul_f64 v[30:31], v[91:92], s[30:31]
	v_mul_f64 v[41:42], v[26:27], s[14:15]
	v_fma_f64 v[28:29], v[99:100], s[4:5], -v[28:29]
	v_add_f64 v[47:48], v[65:66], v[47:48]
	v_add_f64 v[65:66], v[85:86], v[67:68]
	v_fma_f64 v[67:68], v[24:25], s[18:19], v[105:106]
	v_mul_f64 v[85:86], v[91:92], s[36:37]
	v_mul_f64 v[101:102], v[26:27], s[0:1]
	v_fma_f64 v[105:106], v[99:100], s[14:15], v[30:31]
	v_fma_f64 v[107:108], v[24:25], s[22:23], v[41:42]
	v_fma_f64 v[30:31], v[99:100], s[14:15], -v[30:31]
	v_fma_f64 v[41:42], v[24:25], s[30:31], v[41:42]
	v_add_f64 v[28:29], v[28:29], v[69:70]
	v_add_f64 v[67:68], v[67:68], v[71:72]
	v_fma_f64 v[69:70], v[99:100], s[0:1], v[85:86]
	v_fma_f64 v[71:72], v[24:25], s[28:29], v[101:102]
	v_add_f64 v[79:80], v[105:106], v[79:80]
	v_add_f64 v[81:82], v[107:108], v[81:82]
	;; [unrolled: 1-line block ×4, first 2 shown]
	v_mul_f64 v[45:46], v[91:92], s[8:9]
	v_mul_f64 v[49:50], v[26:27], s[2:3]
	v_add_f64 v[69:70], v[69:70], v[73:74]
	v_add_f64 v[71:72], v[71:72], v[83:84]
	v_fma_f64 v[73:74], v[99:100], s[0:1], -v[85:86]
	v_fma_f64 v[83:84], v[24:25], s[36:37], v[101:102]
	v_mul_f64 v[85:86], v[91:92], s[42:43]
	v_mul_f64 v[101:102], v[26:27], s[24:25]
	v_fma_f64 v[105:106], v[99:100], s[2:3], v[45:46]
	v_fma_f64 v[107:108], v[24:25], s[34:35], v[49:50]
	v_fma_f64 v[45:46], v[99:100], s[2:3], -v[45:46]
	v_fma_f64 v[49:50], v[24:25], s[8:9], v[49:50]
	v_add_f64 v[73:74], v[73:74], v[75:76]
	v_add_f64 v[75:76], v[83:84], v[77:78]
	v_fma_f64 v[77:78], v[99:100], s[24:25], v[85:86]
	v_fma_f64 v[83:84], v[24:25], s[26:27], v[101:102]
	v_mul_f64 v[26:27], v[26:27], s[16:17]
	v_add_f64 v[103:104], v[107:108], v[103:104]
	v_add_f64 v[45:46], v[45:46], v[59:60]
	;; [unrolled: 1-line block ×3, first 2 shown]
	v_mul_f64 v[59:60], v[91:92], s[40:41]
	v_add_f64 v[91:92], v[16:17], v[20:21]
	v_add_f64 v[63:64], v[77:78], v[87:88]
	;; [unrolled: 1-line block ×3, first 2 shown]
	v_add_f64 v[83:84], v[18:19], -v[22:23]
	v_add_f64 v[18:19], v[18:19], v[22:23]
	v_fma_f64 v[22:23], v[99:100], s[24:25], -v[85:86]
	v_fma_f64 v[85:86], v[24:25], s[42:43], v[101:102]
	v_fma_f64 v[87:88], v[99:100], s[16:17], v[59:60]
	v_add_f64 v[16:17], v[16:17], -v[20:21]
	v_fma_f64 v[59:60], v[99:100], s[16:17], -v[59:60]
	v_fma_f64 v[89:90], v[24:25], s[20:21], v[26:27]
	v_mul_f64 v[20:21], v[83:84], s[22:23]
	v_mul_f64 v[101:102], v[18:19], s[14:15]
	v_fma_f64 v[24:25], v[24:25], s[40:41], v[26:27]
	v_add_f64 v[22:23], v[22:23], v[43:44]
	v_add_f64 v[26:27], v[85:86], v[61:62]
	v_add_f64 v[43:44], v[87:88], v[93:94]
	v_add_f64 v[0:1], v[59:60], v[0:1]
	v_mul_f64 v[59:60], v[18:19], s[2:3]
	v_fma_f64 v[85:86], v[91:92], s[14:15], v[20:21]
	v_fma_f64 v[87:88], v[16:17], s[30:31], v[101:102]
	v_add_f64 v[61:62], v[89:90], v[95:96]
	v_add_f64 v[6:7], v[24:25], v[6:7]
	v_mul_f64 v[24:25], v[83:84], s[34:35]
	v_fma_f64 v[20:21], v[91:92], s[14:15], -v[20:21]
	v_fma_f64 v[89:90], v[16:17], s[22:23], v[101:102]
	v_fma_f64 v[95:96], v[16:17], s[8:9], v[59:60]
	v_add_f64 v[47:48], v[85:86], v[47:48]
	v_add_f64 v[65:66], v[87:88], v[65:66]
	v_mul_f64 v[85:86], v[83:84], s[20:21]
	v_mul_f64 v[87:88], v[18:19], s[16:17]
	v_fma_f64 v[93:94], v[91:92], s[2:3], v[24:25]
	v_add_f64 v[20:21], v[20:21], v[28:29]
	v_add_f64 v[28:29], v[89:90], v[67:68]
	v_fma_f64 v[24:25], v[91:92], s[2:3], -v[24:25]
	v_fma_f64 v[59:60], v[16:17], s[34:35], v[59:60]
	v_add_f64 v[81:82], v[95:96], v[81:82]
	v_fma_f64 v[67:68], v[91:92], s[16:17], v[85:86]
	v_fma_f64 v[89:90], v[16:17], s[40:41], v[87:88]
	v_mul_f64 v[95:96], v[18:19], s[24:25]
	v_add_f64 v[79:80], v[93:94], v[79:80]
	v_mul_f64 v[93:94], v[83:84], s[42:43]
	v_add_f64 v[24:25], v[24:25], v[30:31]
	v_add_f64 v[30:31], v[59:60], v[41:42]
	;; [unrolled: 1-line block ×5, first 2 shown]
	v_fma_f64 v[67:68], v[91:92], s[16:17], -v[85:86]
	v_fma_f64 v[69:70], v[16:17], s[20:21], v[87:88]
	v_fma_f64 v[85:86], v[16:17], s[26:27], v[95:96]
	v_mul_f64 v[87:88], v[83:84], s[36:37]
	v_mul_f64 v[89:90], v[18:19], s[0:1]
	;; [unrolled: 1-line block ×4, first 2 shown]
	v_fma_f64 v[95:96], v[16:17], s[42:43], v[95:96]
	v_add_f64 v[67:68], v[67:68], v[73:74]
	v_add_f64 v[69:70], v[69:70], v[75:76]
	;; [unrolled: 1-line block ×3, first 2 shown]
	v_fma_f64 v[75:76], v[91:92], s[0:1], v[87:88]
	v_fma_f64 v[85:86], v[16:17], s[28:29], v[89:90]
	v_fma_f64 v[87:88], v[91:92], s[0:1], -v[87:88]
	v_fma_f64 v[89:90], v[16:17], s[36:37], v[89:90]
	v_fma_f64 v[71:72], v[91:92], s[24:25], v[93:94]
	v_fma_f64 v[93:94], v[91:92], s[24:25], -v[93:94]
	v_add_f64 v[97:98], v[105:106], v[97:98]
	v_add_f64 v[49:50], v[95:96], v[49:50]
	;; [unrolled: 1-line block ×4, first 2 shown]
	v_add_f64 v[77:78], v[10:11], -v[14:15]
	v_add_f64 v[10:11], v[10:11], v[14:15]
	v_add_f64 v[14:15], v[87:88], v[22:23]
	;; [unrolled: 1-line block ×3, first 2 shown]
	v_fma_f64 v[26:27], v[91:92], s[4:5], v[83:84]
	v_fma_f64 v[85:86], v[16:17], s[38:39], v[18:19]
	v_add_f64 v[87:88], v[8:9], v[12:13]
	v_add_f64 v[8:9], v[8:9], -v[12:13]
	v_mul_f64 v[12:13], v[77:78], s[26:27]
	v_mul_f64 v[89:90], v[10:11], s[24:25]
	v_fma_f64 v[83:84], v[91:92], s[4:5], -v[83:84]
	v_fma_f64 v[16:17], v[16:17], s[18:19], v[18:19]
	v_add_f64 v[18:19], v[26:27], v[43:44]
	v_add_f64 v[26:27], v[85:86], v[61:62]
	v_mul_f64 v[43:44], v[77:78], s[36:37]
	v_mul_f64 v[61:62], v[10:11], s[0:1]
	v_fma_f64 v[85:86], v[87:88], s[24:25], v[12:13]
	v_fma_f64 v[91:92], v[8:9], s[42:43], v[89:90]
	v_add_f64 v[0:1], v[83:84], v[0:1]
	v_add_f64 v[6:7], v[16:17], v[6:7]
	v_fma_f64 v[16:17], v[8:9], s[26:27], v[89:90]
	v_fma_f64 v[12:13], v[87:88], s[24:25], -v[12:13]
	v_fma_f64 v[83:84], v[87:88], s[0:1], v[43:44]
	v_fma_f64 v[89:90], v[8:9], s[28:29], v[61:62]
	v_add_f64 v[47:48], v[85:86], v[47:48]
	v_add_f64 v[65:66], v[91:92], v[65:66]
	v_mul_f64 v[85:86], v[77:78], s[22:23]
	v_mul_f64 v[91:92], v[10:11], s[14:15]
	v_add_f64 v[45:46], v[93:94], v[45:46]
	v_add_f64 v[93:94], v[16:17], v[28:29]
	;; [unrolled: 1-line block ×4, first 2 shown]
	v_fma_f64 v[28:29], v[8:9], s[36:37], v[61:62]
	v_mul_f64 v[81:82], v[77:78], s[40:41]
	v_add_f64 v[12:13], v[12:13], v[20:21]
	v_fma_f64 v[20:21], v[87:88], s[0:1], -v[43:44]
	v_fma_f64 v[43:44], v[87:88], s[14:15], v[85:86]
	v_fma_f64 v[61:62], v[8:9], s[30:31], v[91:92]
	v_fma_f64 v[85:86], v[87:88], s[14:15], -v[85:86]
	v_add_f64 v[71:72], v[71:72], v[97:98]
	v_mul_f64 v[83:84], v[10:11], s[16:17]
	v_add_f64 v[30:31], v[28:29], v[30:31]
	v_fma_f64 v[28:29], v[87:88], s[16:17], v[81:82]
	v_fma_f64 v[89:90], v[8:9], s[22:23], v[91:92]
	v_add_f64 v[20:21], v[20:21], v[24:25]
	v_add_f64 v[24:25], v[43:44], v[41:42]
	;; [unrolled: 1-line block ×4, first 2 shown]
	v_fma_f64 v[67:68], v[87:88], s[16:17], -v[81:82]
	v_mul_f64 v[81:82], v[77:78], s[18:19]
	v_fma_f64 v[43:44], v[8:9], s[20:21], v[83:84]
	v_add_f64 v[28:29], v[28:29], v[71:72]
	v_mul_f64 v[71:72], v[77:78], s[34:35]
	v_add_f64 v[61:62], v[89:90], v[69:70]
	v_fma_f64 v[69:70], v[8:9], s[40:41], v[83:84]
	v_mul_f64 v[83:84], v[10:11], s[4:5]
	v_mul_f64 v[10:11], v[10:11], s[2:3]
	v_add_f64 v[45:46], v[67:68], v[45:46]
	v_fma_f64 v[67:68], v[87:88], s[4:5], v[81:82]
	v_add_f64 v[43:44], v[43:44], v[73:74]
	v_fma_f64 v[73:74], v[87:88], s[4:5], -v[81:82]
	v_fma_f64 v[81:82], v[87:88], s[2:3], v[71:72]
	v_fma_f64 v[71:72], v[87:88], s[2:3], -v[71:72]
	v_add_f64 v[49:50], v[69:70], v[49:50]
	v_fma_f64 v[69:70], v[8:9], s[38:39], v[83:84]
	v_fma_f64 v[77:78], v[8:9], s[18:19], v[83:84]
	;; [unrolled: 1-line block ×4, first 2 shown]
	v_add_f64 v[10:11], v[67:68], v[63:64]
	v_add_f64 v[18:19], v[81:82], v[18:19]
	;; [unrolled: 1-line block ×8, first 2 shown]
	v_mov_b32_e32 v9, 3
	v_mul_u32_u24_e32 v8, 0x548, v40
	v_lshlrev_b32_sdwa v9, v9, v39 dst_sel:DWORD dst_unused:UNUSED_PAD src0_sel:DWORD src1_sel:BYTE_0
	v_add3_u32 v39, 0, v8, v9
	ds_write2_b64 v39, v[2:3], v[47:48] offset1:13
	ds_write2_b64 v39, v[16:17], v[24:25] offset0:26 offset1:39
	ds_write2_b64 v39, v[28:29], v[10:11] offset0:52 offset1:65
	ds_write2_b64 v39, v[18:19], v[0:1] offset0:78 offset1:91
	ds_write2_b64 v39, v[14:15], v[45:46] offset0:104 offset1:117
	ds_write2_b64 v39, v[59:60], v[20:21] offset0:130 offset1:143
	ds_write_b64 v39, v[12:13] offset:1248
	s_waitcnt lgkmcnt(0)
	s_barrier
	ds_read2_b64 v[0:3], v33 offset1:169
	ds_read2_b64 v[8:11], v34 offset0:82 offset1:251
	ds_read2_b64 v[16:19], v35 offset0:36 offset1:205
	;; [unrolled: 1-line block ×5, first 2 shown]
	ds_read_b64 v[28:29], v33 offset:16224
	s_waitcnt lgkmcnt(0)
	s_barrier
	ds_write2_b64 v39, v[4:5], v[65:66] offset1:13
	ds_write2_b64 v39, v[79:80], v[41:42] offset0:26 offset1:39
	ds_write2_b64 v39, v[43:44], v[63:64] offset0:52 offset1:65
	;; [unrolled: 1-line block ×5, first 2 shown]
	ds_write_b64 v39, v[93:94] offset:1248
	s_waitcnt lgkmcnt(0)
	s_barrier
	s_and_saveexec_b64 s[44:45], vcc
	s_cbranch_execz .LBB0_15
; %bb.14:
	v_mul_u32_u24_e32 v4, 12, v58
	v_lshlrev_b32_e32 v4, 4, v4
	global_load_dwordx4 v[33:36], v4, s[12:13] offset:2576
	global_load_dwordx4 v[46:49], v4, s[12:13] offset:2592
	;; [unrolled: 1-line block ×12, first 2 shown]
	v_mul_i32_i24_e32 v4, 0xffffffa0, v58
	v_add_u32_e32 v30, v32, v4
	v_add_u32_e32 v42, 0x2800, v30
	;; [unrolled: 1-line block ×6, first 2 shown]
	ds_read2_b64 v[4:7], v30 offset1:169
	ds_read_b64 v[30:31], v30 offset:16224
	ds_read2_b64 v[38:41], v32 offset0:54 offset1:223
	ds_read2_b64 v[100:103], v37 offset0:36 offset1:205
	;; [unrolled: 1-line block ×5, first 2 shown]
	s_waitcnt vmcnt(11)
	v_mul_f64 v[42:43], v[24:25], v[33:34]
	v_mul_f64 v[24:25], v[24:25], v[35:36]
	s_waitcnt vmcnt(10)
	v_mul_f64 v[50:51], v[26:27], v[46:47]
	v_mul_f64 v[26:27], v[26:27], v[48:49]
	;; [unrolled: 3-line block ×3, first 2 shown]
	s_waitcnt vmcnt(7)
	v_mul_f64 v[120:121], v[16:17], v[63:64]
	s_waitcnt vmcnt(6)
	v_mul_f64 v[122:123], v[22:23], v[72:73]
	v_mul_f64 v[22:23], v[22:23], v[74:75]
	s_waitcnt vmcnt(5)
	v_mul_f64 v[124:125], v[10:11], v[76:77]
	s_waitcnt vmcnt(1)
	;; [unrolled: 2-line block ×3, first 2 shown]
	v_mul_f64 v[134:135], v[28:29], v[96:97]
	v_mul_f64 v[126:127], v[12:13], v[80:81]
	;; [unrolled: 1-line block ×7, first 2 shown]
	s_waitcnt lgkmcnt(6)
	v_fma_f64 v[86:87], v[6:7], v[86:87], v[132:133]
	s_waitcnt lgkmcnt(5)
	v_fma_f64 v[2:3], v[30:31], v[98:99], v[134:135]
	v_mul_f64 v[12:13], v[12:13], v[82:83]
	v_mul_f64 v[8:9], v[8:9], v[90:91]
	;; [unrolled: 1-line block ×3, first 2 shown]
	s_waitcnt lgkmcnt(4)
	v_fma_f64 v[42:43], v[38:39], v[35:36], v[42:43]
	v_fma_f64 v[44:45], v[38:39], v[33:34], -v[24:25]
	v_fma_f64 v[38:39], v[40:41], v[48:49], v[50:51]
	v_fma_f64 v[40:41], v[40:41], v[46:47], -v[26:27]
	s_waitcnt lgkmcnt(3)
	v_fma_f64 v[50:51], v[102:103], v[59:60], -v[18:19]
	v_fma_f64 v[58:59], v[100:101], v[65:66], v[120:121]
	s_waitcnt lgkmcnt(2)
	v_fma_f64 v[32:33], v[106:107], v[74:75], v[122:123]
	v_fma_f64 v[36:37], v[106:107], v[72:73], -v[22:23]
	s_waitcnt lgkmcnt(1)
	v_fma_f64 v[66:67], v[110:111], v[78:79], v[124:125]
	v_fma_f64 v[106:107], v[6:7], v[84:85], -v[136:137]
	v_fma_f64 v[26:27], v[30:31], v[96:97], -v[28:29]
	s_waitcnt lgkmcnt(0)
	v_fma_f64 v[34:35], v[112:113], v[82:83], v[126:127]
	v_fma_f64 v[82:83], v[108:109], v[90:91], v[128:129]
	v_fma_f64 v[28:29], v[114:115], v[94:95], v[130:131]
	v_add_f64 v[124:125], v[86:87], -v[2:3]
	v_mul_f64 v[118:119], v[20:21], v[68:69]
	v_mul_f64 v[10:11], v[10:11], v[78:79]
	v_fma_f64 v[48:49], v[102:103], v[61:62], v[116:117]
	v_fma_f64 v[90:91], v[108:109], v[88:89], -v[8:9]
	v_fma_f64 v[30:31], v[114:115], v[92:93], -v[14:15]
	v_add_f64 v[122:123], v[106:107], -v[26:27]
	v_add_f64 v[116:117], v[82:83], -v[28:29]
	v_add_f64 v[120:121], v[106:107], v[26:27]
	v_mul_f64 v[6:7], v[124:125], s[26:27]
	v_fma_f64 v[60:61], v[100:101], v[63:64], -v[16:17]
	v_fma_f64 v[74:75], v[110:111], v[76:77], -v[10:11]
	;; [unrolled: 1-line block ×3, first 2 shown]
	v_fma_f64 v[62:63], v[104:105], v[70:71], v[118:119]
	v_add_f64 v[102:103], v[90:91], -v[30:31]
	v_add_f64 v[118:119], v[86:87], v[2:3]
	v_add_f64 v[114:115], v[66:67], -v[34:35]
	v_add_f64 v[96:97], v[90:91], v[30:31]
	v_mul_f64 v[8:9], v[122:123], s[26:27]
	v_mul_f64 v[10:11], v[116:117], s[36:37]
	v_fma_f64 v[134:135], v[120:121], s[24:25], v[6:7]
	v_mul_f64 v[20:21], v[20:21], v[70:71]
	v_add_f64 v[110:111], v[58:59], -v[32:33]
	v_add_f64 v[78:79], v[74:75], -v[46:47]
	v_add_f64 v[98:99], v[82:83], v[28:29]
	v_add_f64 v[76:77], v[74:75], v[46:47]
	v_mul_f64 v[12:13], v[102:103], s[36:37]
	v_mul_f64 v[14:15], v[114:115], s[22:23]
	v_fma_f64 v[144:145], v[118:119], s[24:25], -v[8:9]
	v_fma_f64 v[146:147], v[96:97], s[0:1], v[10:11]
	v_add_f64 v[134:135], v[4:5], v[134:135]
	v_fma_f64 v[64:65], v[104:105], v[68:69], -v[20:21]
	v_add_f64 v[72:73], v[66:67], v[34:35]
	v_add_f64 v[68:69], v[60:61], v[36:37]
	v_add_f64 v[92:93], v[60:61], -v[36:37]
	v_add_f64 v[112:113], v[48:49], -v[62:63]
	v_mul_f64 v[16:17], v[78:79], s[22:23]
	v_mul_f64 v[18:19], v[110:111], s[40:41]
	v_fma_f64 v[148:149], v[98:99], s[0:1], -v[12:13]
	v_fma_f64 v[150:151], v[76:77], s[14:15], v[14:15]
	v_add_f64 v[144:145], v[0:1], v[144:145]
	v_add_f64 v[134:135], v[146:147], v[134:135]
	v_fma_f64 v[6:7], v[120:121], s[24:25], -v[6:7]
	v_fma_f64 v[8:9], v[118:119], s[24:25], v[8:9]
	v_add_f64 v[70:71], v[58:59], v[32:33]
	v_add_f64 v[80:81], v[50:51], v[64:65]
	v_add_f64 v[100:101], v[50:51], -v[64:65]
	v_add_f64 v[108:109], v[42:43], -v[38:39]
	v_mul_f64 v[20:21], v[92:93], s[40:41]
	v_mul_f64 v[22:23], v[112:113], s[18:19]
	;; [unrolled: 1-line block ×3, first 2 shown]
	v_fma_f64 v[152:153], v[72:73], s[14:15], -v[16:17]
	v_fma_f64 v[154:155], v[68:69], s[16:17], v[18:19]
	v_fma_f64 v[10:11], v[96:97], s[0:1], -v[10:11]
	v_fma_f64 v[12:13], v[98:99], s[0:1], v[12:13]
	v_add_f64 v[144:145], v[148:149], v[144:145]
	v_add_f64 v[134:135], v[150:151], v[134:135]
	;; [unrolled: 1-line block ×6, first 2 shown]
	v_add_f64 v[104:105], v[44:45], -v[40:41]
	v_mul_f64 v[24:25], v[100:101], s[18:19]
	v_mul_f64 v[126:127], v[108:109], s[34:35]
	;; [unrolled: 1-line block ×4, first 2 shown]
	v_fma_f64 v[156:157], v[70:71], s[16:17], -v[20:21]
	v_fma_f64 v[158:159], v[80:81], s[4:5], v[22:23]
	v_fma_f64 v[14:15], v[76:77], s[14:15], -v[14:15]
	v_fma_f64 v[16:17], v[72:73], s[14:15], v[16:17]
	v_fma_f64 v[148:149], v[120:121], s[14:15], v[130:131]
	v_add_f64 v[144:145], v[152:153], v[144:145]
	v_add_f64 v[134:135], v[154:155], v[134:135]
	;; [unrolled: 1-line block ×5, first 2 shown]
	v_mul_f64 v[128:129], v[104:105], s[34:35]
	v_mul_f64 v[136:137], v[114:115], s[20:21]
	v_mul_f64 v[142:143], v[102:103], s[34:35]
	v_fma_f64 v[160:161], v[88:89], s[4:5], -v[24:25]
	v_fma_f64 v[146:147], v[84:85], s[2:3], v[126:127]
	v_fma_f64 v[18:19], v[68:69], s[16:17], -v[18:19]
	v_fma_f64 v[20:21], v[70:71], s[16:17], v[20:21]
	v_fma_f64 v[10:11], v[96:97], s[2:3], v[132:133]
	v_fma_f64 v[12:13], v[118:119], s[14:15], -v[140:141]
	v_add_f64 v[148:149], v[4:5], v[148:149]
	v_add_f64 v[144:145], v[156:157], v[144:145]
	;; [unrolled: 1-line block ×5, first 2 shown]
	v_mul_f64 v[138:139], v[110:111], s[42:43]
	v_fma_f64 v[162:163], v[94:95], s[2:3], -v[128:129]
	v_fma_f64 v[150:151], v[76:77], s[16:17], v[136:137]
	v_fma_f64 v[16:17], v[98:99], s[2:3], -v[142:143]
	v_add_f64 v[12:13], v[0:1], v[12:13]
	v_add_f64 v[10:11], v[10:11], v[148:149]
	;; [unrolled: 1-line block ×4, first 2 shown]
	v_mul_f64 v[134:135], v[78:79], s[20:21]
	v_add_f64 v[18:19], v[18:19], v[6:7]
	v_add_f64 v[14:15], v[20:21], v[14:15]
	v_fma_f64 v[20:21], v[80:81], s[4:5], -v[22:23]
	v_fma_f64 v[22:23], v[88:89], s[4:5], v[24:25]
	v_add_f64 v[10:11], v[150:151], v[10:11]
	v_fma_f64 v[24:25], v[68:69], s[24:25], v[138:139]
	v_add_f64 v[12:13], v[16:17], v[12:13]
	v_fma_f64 v[16:17], v[72:73], s[16:17], -v[134:135]
	v_add_f64 v[6:7], v[162:163], v[144:145]
	v_mul_f64 v[144:145], v[92:93], s[42:43]
	v_add_f64 v[18:19], v[20:21], v[18:19]
	v_mul_f64 v[20:21], v[112:113], s[36:37]
	v_add_f64 v[14:15], v[22:23], v[14:15]
	v_fma_f64 v[22:23], v[84:85], s[2:3], -v[126:127]
	v_add_f64 v[10:11], v[24:25], v[10:11]
	v_add_f64 v[16:17], v[16:17], v[12:13]
	v_fma_f64 v[24:25], v[120:121], s[14:15], -v[130:131]
	v_fma_f64 v[126:127], v[70:71], s[24:25], -v[144:145]
	v_mul_f64 v[130:131], v[100:101], s[36:37]
	v_fma_f64 v[146:147], v[80:81], s[0:1], v[20:21]
	v_mul_f64 v[148:149], v[108:109], s[18:19]
	v_fma_f64 v[128:129], v[94:95], s[2:3], v[128:129]
	v_add_f64 v[12:13], v[22:23], v[18:19]
	v_fma_f64 v[18:19], v[96:97], s[2:3], -v[132:133]
	v_add_f64 v[22:23], v[4:5], v[24:25]
	v_add_f64 v[16:17], v[126:127], v[16:17]
	v_fma_f64 v[24:25], v[88:89], s[0:1], -v[130:131]
	v_add_f64 v[126:127], v[146:147], v[10:11]
	v_fma_f64 v[132:133], v[118:119], s[14:15], v[140:141]
	v_fma_f64 v[140:141], v[84:85], s[4:5], v[148:149]
	v_mul_f64 v[146:147], v[124:125], s[18:19]
	v_add_f64 v[10:11], v[128:129], v[14:15]
	v_add_f64 v[14:15], v[18:19], v[22:23]
	v_fma_f64 v[18:19], v[76:77], s[16:17], -v[136:137]
	v_add_f64 v[22:23], v[24:25], v[16:17]
	v_fma_f64 v[24:25], v[98:99], s[2:3], v[142:143]
	v_add_f64 v[128:129], v[0:1], v[132:133]
	v_add_f64 v[16:17], v[140:141], v[126:127]
	v_fma_f64 v[126:127], v[120:121], s[4:5], v[146:147]
	v_mul_f64 v[132:133], v[116:117], s[30:31]
	v_mul_f64 v[140:141], v[122:123], s[18:19]
	;; [unrolled: 1-line block ×3, first 2 shown]
	v_add_f64 v[14:15], v[18:19], v[14:15]
	v_fma_f64 v[18:19], v[68:69], s[24:25], -v[138:139]
	v_add_f64 v[24:25], v[24:25], v[128:129]
	v_fma_f64 v[128:129], v[72:73], s[16:17], v[134:135]
	v_add_f64 v[126:127], v[4:5], v[126:127]
	v_fma_f64 v[134:135], v[96:97], s[14:15], v[132:133]
	v_mul_f64 v[138:139], v[114:115], s[36:37]
	v_fma_f64 v[150:151], v[118:119], s[4:5], -v[140:141]
	v_mul_f64 v[152:153], v[102:103], s[30:31]
	v_fma_f64 v[142:143], v[94:95], s[4:5], -v[136:137]
	v_add_f64 v[18:19], v[18:19], v[14:15]
	v_add_f64 v[14:15], v[128:129], v[24:25]
	v_fma_f64 v[24:25], v[70:71], s[24:25], v[144:145]
	v_add_f64 v[126:127], v[134:135], v[126:127]
	v_fma_f64 v[128:129], v[76:77], s[0:1], v[138:139]
	v_mul_f64 v[134:135], v[110:111], s[8:9]
	v_add_f64 v[144:145], v[0:1], v[150:151]
	v_fma_f64 v[150:151], v[98:99], s[14:15], -v[152:153]
	v_mul_f64 v[154:155], v[78:79], s[36:37]
	v_fma_f64 v[20:21], v[80:81], s[0:1], -v[20:21]
	v_add_f64 v[24:25], v[24:25], v[14:15]
	v_fma_f64 v[130:131], v[88:89], s[0:1], v[130:131]
	v_add_f64 v[14:15], v[142:143], v[22:23]
	v_add_f64 v[22:23], v[128:129], v[126:127]
	v_fma_f64 v[126:127], v[68:69], s[2:3], v[134:135]
	v_add_f64 v[128:129], v[150:151], v[144:145]
	v_fma_f64 v[142:143], v[72:73], s[0:1], -v[154:155]
	v_mul_f64 v[144:145], v[92:93], s[8:9]
	v_add_f64 v[18:19], v[20:21], v[18:19]
	v_add_f64 v[24:25], v[130:131], v[24:25]
	v_mul_f64 v[130:131], v[112:113], s[42:43]
	v_fma_f64 v[20:21], v[84:85], s[4:5], -v[148:149]
	v_fma_f64 v[136:137], v[94:95], s[4:5], v[136:137]
	v_add_f64 v[22:23], v[126:127], v[22:23]
	v_add_f64 v[126:127], v[142:143], v[128:129]
	v_fma_f64 v[128:129], v[120:121], s[4:5], -v[146:147]
	v_fma_f64 v[142:143], v[70:71], s[2:3], -v[144:145]
	v_mul_f64 v[146:147], v[100:101], s[42:43]
	v_fma_f64 v[148:149], v[80:81], s[24:25], v[130:131]
	v_add_f64 v[20:21], v[20:21], v[18:19]
	v_mul_f64 v[150:151], v[108:109], s[40:41]
	v_add_f64 v[18:19], v[136:137], v[24:25]
	v_fma_f64 v[24:25], v[96:97], s[14:15], -v[132:133]
	v_add_f64 v[128:129], v[4:5], v[128:129]
	v_add_f64 v[126:127], v[142:143], v[126:127]
	v_fma_f64 v[132:133], v[88:89], s[24:25], -v[146:147]
	v_fma_f64 v[136:137], v[118:119], s[4:5], v[140:141]
	v_add_f64 v[22:23], v[148:149], v[22:23]
	v_fma_f64 v[140:141], v[84:85], s[16:17], v[150:151]
	v_mul_f64 v[142:143], v[124:125], s[8:9]
	v_mul_f64 v[148:149], v[104:105], s[40:41]
	v_add_f64 v[128:129], v[24:25], v[128:129]
	v_fma_f64 v[138:139], v[76:77], s[0:1], -v[138:139]
	v_add_f64 v[126:127], v[132:133], v[126:127]
	v_fma_f64 v[132:133], v[98:99], s[14:15], v[152:153]
	v_add_f64 v[136:137], v[0:1], v[136:137]
	v_add_f64 v[24:25], v[140:141], v[22:23]
	v_fma_f64 v[22:23], v[120:121], s[2:3], v[142:143]
	v_mul_f64 v[140:141], v[116:117], s[26:27]
	v_fma_f64 v[152:153], v[94:95], s[16:17], -v[148:149]
	v_add_f64 v[128:129], v[138:139], v[128:129]
	v_mul_f64 v[138:139], v[122:123], s[8:9]
	v_fma_f64 v[134:135], v[68:69], s[2:3], -v[134:135]
	v_add_f64 v[132:133], v[132:133], v[136:137]
	v_fma_f64 v[136:137], v[72:73], s[0:1], v[154:155]
	v_add_f64 v[154:155], v[4:5], v[22:23]
	v_fma_f64 v[156:157], v[96:97], s[24:25], v[140:141]
	v_mul_f64 v[158:159], v[114:115], s[38:39]
	v_add_f64 v[22:23], v[152:153], v[126:127]
	v_fma_f64 v[126:127], v[118:119], s[2:3], -v[138:139]
	v_mul_f64 v[152:153], v[102:103], s[26:27]
	v_add_f64 v[128:129], v[134:135], v[128:129]
	v_add_f64 v[132:133], v[136:137], v[132:133]
	v_fma_f64 v[134:135], v[70:71], s[2:3], v[144:145]
	v_add_f64 v[136:137], v[156:157], v[154:155]
	v_fma_f64 v[144:145], v[76:77], s[4:5], v[158:159]
	v_mul_f64 v[154:155], v[110:111], s[36:37]
	v_add_f64 v[126:127], v[0:1], v[126:127]
	v_fma_f64 v[156:157], v[98:99], s[24:25], -v[152:153]
	v_mul_f64 v[160:161], v[78:79], s[38:39]
	v_fma_f64 v[130:131], v[80:81], s[24:25], -v[130:131]
	v_add_f64 v[132:133], v[134:135], v[132:133]
	v_fma_f64 v[134:135], v[88:89], s[24:25], v[146:147]
	v_add_f64 v[136:137], v[144:145], v[136:137]
	v_fma_f64 v[144:145], v[68:69], s[0:1], v[154:155]
	v_mul_f64 v[146:147], v[112:113], s[20:21]
	v_add_f64 v[126:127], v[156:157], v[126:127]
	v_fma_f64 v[156:157], v[72:73], s[4:5], -v[160:161]
	v_mul_f64 v[162:163], v[92:93], s[36:37]
	v_add_f64 v[128:129], v[130:131], v[128:129]
	v_add_f64 v[130:131], v[134:135], v[132:133]
	v_fma_f64 v[132:133], v[84:85], s[16:17], -v[150:151]
	v_fma_f64 v[142:143], v[120:121], s[2:3], -v[142:143]
	v_add_f64 v[134:135], v[144:145], v[136:137]
	v_fma_f64 v[136:137], v[80:81], s[16:17], v[146:147]
	v_add_f64 v[126:127], v[156:157], v[126:127]
	v_fma_f64 v[144:145], v[70:71], s[0:1], -v[162:163]
	v_mul_f64 v[150:151], v[100:101], s[20:21]
	v_mul_f64 v[156:157], v[108:109], s[22:23]
	v_fma_f64 v[148:149], v[94:95], s[16:17], v[148:149]
	v_add_f64 v[128:129], v[132:133], v[128:129]
	v_fma_f64 v[132:133], v[96:97], s[24:25], -v[140:141]
	v_add_f64 v[140:141], v[4:5], v[142:143]
	v_add_f64 v[134:135], v[136:137], v[134:135]
	;; [unrolled: 1-line block ×3, first 2 shown]
	v_fma_f64 v[142:143], v[88:89], s[16:17], -v[150:151]
	v_fma_f64 v[144:145], v[84:85], s[14:15], v[156:157]
	v_add_f64 v[126:127], v[148:149], v[130:131]
	v_mul_f64 v[148:149], v[124:125], s[20:21]
	v_fma_f64 v[138:139], v[118:119], s[2:3], v[138:139]
	v_add_f64 v[130:131], v[132:133], v[140:141]
	v_fma_f64 v[140:141], v[76:77], s[4:5], -v[158:159]
	v_mul_f64 v[158:159], v[122:123], s[20:21]
	v_add_f64 v[136:137], v[142:143], v[136:137]
	v_add_f64 v[132:133], v[144:145], v[134:135]
	v_mul_f64 v[144:145], v[116:117], s[18:19]
	v_fma_f64 v[142:143], v[120:121], s[16:17], v[148:149]
	v_mul_f64 v[166:167], v[102:103], s[18:19]
	v_fma_f64 v[154:155], v[68:69], s[0:1], -v[154:155]
	v_add_f64 v[130:131], v[140:141], v[130:131]
	v_fma_f64 v[140:141], v[118:119], s[16:17], -v[158:159]
	v_fma_f64 v[152:153], v[98:99], s[24:25], v[152:153]
	v_add_f64 v[138:139], v[0:1], v[138:139]
	v_fma_f64 v[168:169], v[96:97], s[4:5], v[144:145]
	v_add_f64 v[142:143], v[4:5], v[142:143]
	v_mul_f64 v[170:171], v[114:115], s[26:27]
	v_fma_f64 v[172:173], v[98:99], s[4:5], -v[166:167]
	v_mul_f64 v[174:175], v[78:79], s[26:27]
	v_add_f64 v[140:141], v[0:1], v[140:141]
	v_mul_f64 v[164:165], v[104:105], s[22:23]
	v_add_f64 v[154:155], v[154:155], v[130:131]
	v_add_f64 v[130:131], v[152:153], v[138:139]
	v_fma_f64 v[138:139], v[72:73], s[4:5], v[160:161]
	v_add_f64 v[142:143], v[168:169], v[142:143]
	v_fma_f64 v[152:153], v[76:77], s[24:25], v[170:171]
	v_mul_f64 v[160:161], v[110:111], s[30:31]
	v_add_f64 v[140:141], v[172:173], v[140:141]
	v_fma_f64 v[168:169], v[72:73], s[24:25], -v[174:175]
	v_mul_f64 v[172:173], v[92:93], s[30:31]
	v_fma_f64 v[134:135], v[94:95], s[14:15], -v[164:165]
	v_fma_f64 v[146:147], v[80:81], s[16:17], -v[146:147]
	v_add_f64 v[138:139], v[138:139], v[130:131]
	v_fma_f64 v[162:163], v[70:71], s[0:1], v[162:163]
	v_add_f64 v[142:143], v[152:153], v[142:143]
	v_fma_f64 v[152:153], v[68:69], s[14:15], v[160:161]
	v_mul_f64 v[176:177], v[112:113], s[34:35]
	v_add_f64 v[140:141], v[168:169], v[140:141]
	v_fma_f64 v[168:169], v[70:71], s[14:15], -v[172:173]
	v_mul_f64 v[178:179], v[100:101], s[34:35]
	v_add_f64 v[130:131], v[134:135], v[136:137]
	v_add_f64 v[134:135], v[146:147], v[154:155]
	;; [unrolled: 1-line block ×3, first 2 shown]
	v_fma_f64 v[138:139], v[88:89], s[16:17], v[150:151]
	v_add_f64 v[142:143], v[152:153], v[142:143]
	v_fma_f64 v[146:147], v[80:81], s[2:3], v[176:177]
	v_add_f64 v[140:141], v[168:169], v[140:141]
	v_fma_f64 v[150:151], v[88:89], s[2:3], -v[178:179]
	v_mul_f64 v[152:153], v[108:109], s[36:37]
	v_mul_f64 v[154:155], v[104:105], s[36:37]
	;; [unrolled: 1-line block ×3, first 2 shown]
	v_fma_f64 v[156:157], v[84:85], s[14:15], -v[156:157]
	v_add_f64 v[136:137], v[138:139], v[136:137]
	v_fma_f64 v[138:139], v[94:95], s[14:15], v[164:165]
	v_add_f64 v[142:143], v[146:147], v[142:143]
	v_add_f64 v[140:141], v[150:151], v[140:141]
	v_fma_f64 v[146:147], v[84:85], s[0:1], v[152:153]
	v_fma_f64 v[150:151], v[94:95], s[0:1], -v[154:155]
	v_fma_f64 v[148:149], v[120:121], s[16:17], -v[148:149]
	v_fma_f64 v[164:165], v[120:121], s[0:1], v[162:163]
	v_fma_f64 v[120:121], v[120:121], s[0:1], -v[162:163]
	v_add_f64 v[124:125], v[156:157], v[134:135]
	v_mul_f64 v[156:157], v[122:123], s[28:29]
	v_add_f64 v[122:123], v[138:139], v[136:137]
	v_add_f64 v[136:137], v[146:147], v[142:143]
	;; [unrolled: 1-line block ×8, first 2 shown]
	v_fma_f64 v[138:139], v[118:119], s[16:17], v[158:159]
	v_fma_f64 v[142:143], v[118:119], s[0:1], -v[156:157]
	v_fma_f64 v[144:145], v[96:97], s[4:5], -v[144:145]
	v_mul_f64 v[116:117], v[116:117], s[20:21]
	v_fma_f64 v[106:107], v[118:119], s[0:1], v[156:157]
	v_mul_lo_u32 v150, s7, v54
	v_add_f64 v[4:5], v[90:91], v[4:5]
	v_add_f64 v[82:83], v[82:83], v[86:87]
	;; [unrolled: 1-line block ×5, first 2 shown]
	v_fma_f64 v[142:143], v[76:77], s[24:25], -v[170:171]
	v_fma_f64 v[148:149], v[96:97], s[16:17], v[116:117]
	v_mul_f64 v[86:87], v[114:115], s[8:9]
	v_add_f64 v[4:5], v[74:75], v[4:5]
	v_add_f64 v[66:67], v[66:67], v[82:83]
	v_fma_f64 v[114:115], v[68:69], s[14:15], -v[160:161]
	v_mul_f64 v[82:83], v[110:111], s[18:19]
	v_add_f64 v[0:1], v[0:1], v[106:107]
	v_add_f64 v[90:91], v[142:143], v[140:141]
	v_add_f64 v[142:143], v[148:149], v[146:147]
	v_fma_f64 v[74:75], v[76:77], s[2:3], v[86:87]
	v_add_f64 v[4:5], v[60:61], v[4:5]
	v_add_f64 v[58:59], v[58:59], v[66:67]
	v_fma_f64 v[144:145], v[98:99], s[4:5], v[166:167]
	v_fma_f64 v[140:141], v[72:73], s[24:25], v[174:175]
	v_mul_lo_u32 v151, s6, v55
	v_add_f64 v[60:61], v[114:115], v[90:91]
	v_mul_f64 v[90:91], v[112:113], s[22:23]
	v_add_f64 v[66:67], v[74:75], v[142:143]
	v_fma_f64 v[74:75], v[68:69], s[4:5], v[82:83]
	v_add_f64 v[4:5], v[50:51], v[4:5]
	v_add_f64 v[48:49], v[48:49], v[58:59]
	v_fma_f64 v[112:113], v[80:81], s[2:3], -v[176:177]
	v_mul_f64 v[58:59], v[102:103], s[20:21]
	v_add_f64 v[118:119], v[144:145], v[118:119]
	v_fma_f64 v[50:51], v[88:89], s[2:3], v[178:179]
	v_mad_u64_u32 v[54:55], s[6:7], s6, v54, 0
	v_add_f64 v[66:67], v[74:75], v[66:67]
	v_fma_f64 v[74:75], v[80:81], s[14:15], v[90:91]
	v_add_f64 v[4:5], v[44:45], v[4:5]
	v_add_f64 v[42:43], v[42:43], v[48:49]
	;; [unrolled: 1-line block ×3, first 2 shown]
	v_fma_f64 v[48:49], v[98:99], s[16:17], -v[58:59]
	v_fma_f64 v[58:59], v[98:99], s[16:17], v[58:59]
	v_mul_f64 v[98:99], v[100:101], s[22:23]
	v_add_f64 v[110:111], v[140:141], v[118:119]
	v_add_f64 v[60:61], v[74:75], v[66:67]
	v_fma_f64 v[66:67], v[96:97], s[16:17], -v[116:117]
	v_add_f64 v[4:5], v[40:41], v[4:5]
	v_mul_f64 v[40:41], v[78:79], s[8:9]
	v_add_f64 v[38:39], v[38:39], v[42:43]
	v_add_f64 v[42:43], v[48:49], v[138:139]
	v_fma_f64 v[74:75], v[76:77], s[2:3], -v[86:87]
	v_mul_f64 v[86:87], v[92:93], s[18:19]
	v_add_f64 v[0:1], v[58:59], v[0:1]
	v_add_f64 v[66:67], v[66:67], v[120:121]
	;; [unrolled: 1-line block ×3, first 2 shown]
	v_fma_f64 v[92:93], v[72:73], s[2:3], -v[40:41]
	v_fma_f64 v[40:41], v[72:73], s[2:3], v[40:41]
	v_add_f64 v[38:39], v[62:63], v[38:39]
	v_fma_f64 v[62:63], v[68:69], s[4:5], -v[82:83]
	v_fma_f64 v[58:59], v[70:71], s[4:5], -v[86:87]
	v_fma_f64 v[118:119], v[70:71], s[14:15], v[172:173]
	v_add_f64 v[64:65], v[74:75], v[66:67]
	v_fma_f64 v[66:67], v[70:71], s[4:5], v[86:87]
	v_add_f64 v[42:43], v[92:93], v[42:43]
	v_add_f64 v[0:1], v[40:41], v[0:1]
	;; [unrolled: 1-line block ×4, first 2 shown]
	v_mul_f64 v[96:97], v[104:105], s[26:27]
	v_fma_f64 v[36:37], v[88:89], s[14:15], -v[98:99]
	v_fma_f64 v[40:41], v[80:81], s[14:15], -v[90:91]
	v_mul_f64 v[48:49], v[108:109], s[26:27]
	v_add_f64 v[38:39], v[58:59], v[42:43]
	v_add_f64 v[42:43], v[62:63], v[64:65]
	v_fma_f64 v[58:59], v[88:89], s[14:15], v[98:99]
	v_add_f64 v[0:1], v[66:67], v[0:1]
	v_add_f64 v[4:5], v[46:47], v[4:5]
	;; [unrolled: 1-line block ×4, first 2 shown]
	v_fma_f64 v[46:47], v[94:95], s[24:25], -v[96:97]
	v_add_f64 v[36:37], v[36:37], v[38:39]
	v_add_f64 v[40:41], v[40:41], v[42:43]
	v_fma_f64 v[42:43], v[94:95], s[24:25], v[96:97]
	v_add_f64 v[0:1], v[58:59], v[0:1]
	v_fma_f64 v[72:73], v[84:85], s[24:25], v[48:49]
	v_fma_f64 v[38:39], v[84:85], s[24:25], -v[48:49]
	v_add_f64 v[4:5], v[30:31], v[4:5]
	v_add_f64 v[48:49], v[28:29], v[32:33]
	;; [unrolled: 1-line block ×3, first 2 shown]
	v_fma_f64 v[76:77], v[84:85], s[0:1], -v[152:153]
	v_fma_f64 v[78:79], v[94:95], s[0:1], v[154:155]
	v_add3_u32 v55, v55, v151, v150
	v_add_f64 v[32:33], v[46:47], v[36:37]
	v_add_f64 v[36:37], v[42:43], v[0:1]
	v_lshlrev_b64 v[0:1], 4, v[54:55]
	v_add_f64 v[4:5], v[26:27], v[4:5]
	v_add_f64 v[2:3], v[2:3], v[48:49]
	v_mov_b32_e32 v26, s11
	v_add_co_u32_e32 v27, vcc, s10, v0
	v_add_f64 v[38:39], v[38:39], v[40:41]
	v_addc_co_u32_e32 v26, vcc, v26, v1, vcc
	v_lshlrev_b64 v[0:1], 4, v[52:53]
	v_add_f64 v[30:31], v[76:77], v[44:45]
	v_add_f64 v[28:29], v[78:79], v[50:51]
	v_add_co_u32_e32 v27, vcc, v27, v0
	v_addc_co_u32_e32 v26, vcc, v26, v1, vcc
	v_lshlrev_b64 v[0:1], 4, v[56:57]
	s_movk_i32 s0, 0x1000
	v_add_co_u32_e32 v0, vcc, v27, v0
	v_addc_co_u32_e32 v1, vcc, v26, v1, vcc
	global_store_dwordx4 v[0:1], v[2:5], off
	global_store_dwordx4 v[0:1], v[36:39], off offset:2704
	v_add_co_u32_e32 v2, vcc, s0, v0
	v_addc_co_u32_e32 v3, vcc, 0, v1, vcc
	s_movk_i32 s0, 0x2000
	global_store_dwordx4 v[2:3], v[28:31], off offset:1312
	global_store_dwordx4 v[2:3], v[122:125], off offset:4016
	v_add_co_u32_e32 v2, vcc, s0, v0
	v_addc_co_u32_e32 v3, vcc, 0, v1, vcc
	s_movk_i32 s0, 0x3000
	global_store_dwordx4 v[2:3], v[126:129], off offset:2624
	v_add_co_u32_e32 v2, vcc, s0, v0
	v_addc_co_u32_e32 v3, vcc, 0, v1, vcc
	s_movk_i32 s0, 0x4000
	global_store_dwordx4 v[2:3], v[18:21], off offset:1232
	global_store_dwordx4 v[2:3], v[10:13], off offset:3936
	v_add_co_u32_e32 v2, vcc, s0, v0
	v_add_f64 v[34:35], v[72:73], v[60:61]
	v_addc_co_u32_e32 v3, vcc, 0, v1, vcc
	s_movk_i32 s0, 0x5000
	global_store_dwordx4 v[2:3], v[6:9], off offset:2544
	v_add_co_u32_e32 v2, vcc, s0, v0
	v_addc_co_u32_e32 v3, vcc, 0, v1, vcc
	global_store_dwordx4 v[2:3], v[14:17], off offset:1152
	global_store_dwordx4 v[2:3], v[22:25], off offset:3856
	v_add_co_u32_e32 v2, vcc, 0x6000, v0
	v_addc_co_u32_e32 v3, vcc, 0, v1, vcc
	v_add_co_u32_e32 v0, vcc, 0x7000, v0
	v_addc_co_u32_e32 v1, vcc, 0, v1, vcc
	global_store_dwordx4 v[2:3], v[130:133], off offset:2464
	global_store_dwordx4 v[0:1], v[134:137], off offset:1072
	global_store_dwordx4 v[0:1], v[32:35], off offset:3776
.LBB0_15:
	s_endpgm
	.section	.rodata,"a",@progbits
	.p2align	6, 0x0
	.amdhsa_kernel fft_rtc_back_len2197_factors_13_13_13_wgs_169_tpt_169_halfLds_dp_op_CI_CI_unitstride_sbrr_dirReg
		.amdhsa_group_segment_fixed_size 0
		.amdhsa_private_segment_fixed_size 0
		.amdhsa_kernarg_size 104
		.amdhsa_user_sgpr_count 6
		.amdhsa_user_sgpr_private_segment_buffer 1
		.amdhsa_user_sgpr_dispatch_ptr 0
		.amdhsa_user_sgpr_queue_ptr 0
		.amdhsa_user_sgpr_kernarg_segment_ptr 1
		.amdhsa_user_sgpr_dispatch_id 0
		.amdhsa_user_sgpr_flat_scratch_init 0
		.amdhsa_user_sgpr_private_segment_size 0
		.amdhsa_uses_dynamic_stack 0
		.amdhsa_system_sgpr_private_segment_wavefront_offset 0
		.amdhsa_system_sgpr_workgroup_id_x 1
		.amdhsa_system_sgpr_workgroup_id_y 0
		.amdhsa_system_sgpr_workgroup_id_z 0
		.amdhsa_system_sgpr_workgroup_info 0
		.amdhsa_system_vgpr_workitem_id 0
		.amdhsa_next_free_vgpr 180
		.amdhsa_next_free_sgpr 46
		.amdhsa_reserve_vcc 1
		.amdhsa_reserve_flat_scratch 0
		.amdhsa_float_round_mode_32 0
		.amdhsa_float_round_mode_16_64 0
		.amdhsa_float_denorm_mode_32 3
		.amdhsa_float_denorm_mode_16_64 3
		.amdhsa_dx10_clamp 1
		.amdhsa_ieee_mode 1
		.amdhsa_fp16_overflow 0
		.amdhsa_exception_fp_ieee_invalid_op 0
		.amdhsa_exception_fp_denorm_src 0
		.amdhsa_exception_fp_ieee_div_zero 0
		.amdhsa_exception_fp_ieee_overflow 0
		.amdhsa_exception_fp_ieee_underflow 0
		.amdhsa_exception_fp_ieee_inexact 0
		.amdhsa_exception_int_div_zero 0
	.end_amdhsa_kernel
	.text
.Lfunc_end0:
	.size	fft_rtc_back_len2197_factors_13_13_13_wgs_169_tpt_169_halfLds_dp_op_CI_CI_unitstride_sbrr_dirReg, .Lfunc_end0-fft_rtc_back_len2197_factors_13_13_13_wgs_169_tpt_169_halfLds_dp_op_CI_CI_unitstride_sbrr_dirReg
                                        ; -- End function
	.section	.AMDGPU.csdata,"",@progbits
; Kernel info:
; codeLenInByte = 13712
; NumSgprs: 50
; NumVgprs: 180
; ScratchSize: 0
; MemoryBound: 1
; FloatMode: 240
; IeeeMode: 1
; LDSByteSize: 0 bytes/workgroup (compile time only)
; SGPRBlocks: 6
; VGPRBlocks: 44
; NumSGPRsForWavesPerEU: 50
; NumVGPRsForWavesPerEU: 180
; Occupancy: 1
; WaveLimiterHint : 1
; COMPUTE_PGM_RSRC2:SCRATCH_EN: 0
; COMPUTE_PGM_RSRC2:USER_SGPR: 6
; COMPUTE_PGM_RSRC2:TRAP_HANDLER: 0
; COMPUTE_PGM_RSRC2:TGID_X_EN: 1
; COMPUTE_PGM_RSRC2:TGID_Y_EN: 0
; COMPUTE_PGM_RSRC2:TGID_Z_EN: 0
; COMPUTE_PGM_RSRC2:TIDIG_COMP_CNT: 0
	.type	__hip_cuid_7367dbb1df66cf18,@object ; @__hip_cuid_7367dbb1df66cf18
	.section	.bss,"aw",@nobits
	.globl	__hip_cuid_7367dbb1df66cf18
__hip_cuid_7367dbb1df66cf18:
	.byte	0                               ; 0x0
	.size	__hip_cuid_7367dbb1df66cf18, 1

	.ident	"AMD clang version 19.0.0git (https://github.com/RadeonOpenCompute/llvm-project roc-6.4.0 25133 c7fe45cf4b819c5991fe208aaa96edf142730f1d)"
	.section	".note.GNU-stack","",@progbits
	.addrsig
	.addrsig_sym __hip_cuid_7367dbb1df66cf18
	.amdgpu_metadata
---
amdhsa.kernels:
  - .args:
      - .actual_access:  read_only
        .address_space:  global
        .offset:         0
        .size:           8
        .value_kind:     global_buffer
      - .offset:         8
        .size:           8
        .value_kind:     by_value
      - .actual_access:  read_only
        .address_space:  global
        .offset:         16
        .size:           8
        .value_kind:     global_buffer
      - .actual_access:  read_only
        .address_space:  global
        .offset:         24
        .size:           8
        .value_kind:     global_buffer
      - .actual_access:  read_only
        .address_space:  global
        .offset:         32
        .size:           8
        .value_kind:     global_buffer
      - .offset:         40
        .size:           8
        .value_kind:     by_value
      - .actual_access:  read_only
        .address_space:  global
        .offset:         48
        .size:           8
        .value_kind:     global_buffer
      - .actual_access:  read_only
        .address_space:  global
        .offset:         56
        .size:           8
        .value_kind:     global_buffer
      - .offset:         64
        .size:           4
        .value_kind:     by_value
      - .actual_access:  read_only
        .address_space:  global
        .offset:         72
        .size:           8
        .value_kind:     global_buffer
      - .actual_access:  read_only
        .address_space:  global
        .offset:         80
        .size:           8
        .value_kind:     global_buffer
      - .actual_access:  read_only
        .address_space:  global
        .offset:         88
        .size:           8
        .value_kind:     global_buffer
      - .actual_access:  write_only
        .address_space:  global
        .offset:         96
        .size:           8
        .value_kind:     global_buffer
    .group_segment_fixed_size: 0
    .kernarg_segment_align: 8
    .kernarg_segment_size: 104
    .language:       OpenCL C
    .language_version:
      - 2
      - 0
    .max_flat_workgroup_size: 169
    .name:           fft_rtc_back_len2197_factors_13_13_13_wgs_169_tpt_169_halfLds_dp_op_CI_CI_unitstride_sbrr_dirReg
    .private_segment_fixed_size: 0
    .sgpr_count:     50
    .sgpr_spill_count: 0
    .symbol:         fft_rtc_back_len2197_factors_13_13_13_wgs_169_tpt_169_halfLds_dp_op_CI_CI_unitstride_sbrr_dirReg.kd
    .uniform_work_group_size: 1
    .uses_dynamic_stack: false
    .vgpr_count:     180
    .vgpr_spill_count: 0
    .wavefront_size: 64
amdhsa.target:   amdgcn-amd-amdhsa--gfx906
amdhsa.version:
  - 1
  - 2
...

	.end_amdgpu_metadata
